;; amdgpu-corpus repo=ROCm/rocFFT kind=compiled arch=gfx1201 opt=O3
	.text
	.amdgcn_target "amdgcn-amd-amdhsa--gfx1201"
	.amdhsa_code_object_version 6
	.protected	bluestein_single_fwd_len975_dim1_half_op_CI_CI ; -- Begin function bluestein_single_fwd_len975_dim1_half_op_CI_CI
	.globl	bluestein_single_fwd_len975_dim1_half_op_CI_CI
	.p2align	8
	.type	bluestein_single_fwd_len975_dim1_half_op_CI_CI,@function
bluestein_single_fwd_len975_dim1_half_op_CI_CI: ; @bluestein_single_fwd_len975_dim1_half_op_CI_CI
; %bb.0:
	s_load_b128 s[12:15], s[0:1], 0x28
	v_mul_u32_u24_e32 v1, 0x691, v0
	s_mov_b32 s2, exec_lo
	s_delay_alu instid0(VALU_DEP_1) | instskip(NEXT) | instid1(VALU_DEP_1)
	v_lshrrev_b32_e32 v1, 16, v1
	v_mad_co_u64_u32 v[44:45], null, ttmp9, 3, v[1:2]
	v_mov_b32_e32 v45, 0
	s_wait_kmcnt 0x0
	s_delay_alu instid0(VALU_DEP_1)
	v_cmpx_gt_u64_e64 s[12:13], v[44:45]
	s_cbranch_execz .LBB0_23
; %bb.1:
	s_clause 0x1
	s_load_b128 s[4:7], s[0:1], 0x18
	s_load_b64 s[12:13], s[0:1], 0x0
	v_mul_lo_u16 v1, v1, 39
	s_mov_b32 s16, 0
	s_delay_alu instid0(VALU_DEP_1) | instskip(NEXT) | instid1(VALU_DEP_1)
	v_sub_nc_u16 v7, v0, v1
	v_and_b32_e32 v42, 0xffff, v7
	s_wait_kmcnt 0x0
	s_load_b128 s[8:11], s[4:5], 0x0
	s_wait_kmcnt 0x0
	v_mad_co_u64_u32 v[0:1], null, s10, v44, 0
	v_mad_co_u64_u32 v[2:3], null, s8, v42, 0
	s_mul_u64 s[2:3], s[8:9], 0x4b
	s_delay_alu instid0(VALU_DEP_1) | instskip(NEXT) | instid1(VALU_DEP_2)
	v_mad_co_u64_u32 v[4:5], null, s11, v44, v[1:2]
	v_mov_b32_e32 v1, v3
	v_lshlrev_b32_e32 v77, 2, v42
	s_clause 0x7
	global_load_b32 v113, v77, s[12:13]
	global_load_b32 v111, v77, s[12:13] offset:300
	global_load_b32 v109, v77, s[12:13] offset:600
	;; [unrolled: 1-line block ×7, first 2 shown]
	v_mad_co_u64_u32 v[5:6], null, s9, v42, v[1:2]
	v_mov_b32_e32 v1, v4
	s_clause 0x3
	global_load_b32 v98, v77, s[12:13] offset:2400
	global_load_b32 v96, v77, s[12:13] offset:2700
	;; [unrolled: 1-line block ×4, first 2 shown]
	s_load_b64 s[10:11], s[0:1], 0x38
	v_lshlrev_b64_e32 v[0:1], 2, v[0:1]
	v_mov_b32_e32 v3, v5
	s_delay_alu instid0(VALU_DEP_1) | instskip(NEXT) | instid1(VALU_DEP_3)
	v_lshlrev_b64_e32 v[2:3], 2, v[2:3]
	v_add_co_u32 v0, vcc_lo, s14, v0
	s_delay_alu instid0(VALU_DEP_4) | instskip(SKIP_1) | instid1(VALU_DEP_2)
	v_add_co_ci_u32_e32 v1, vcc_lo, s15, v1, vcc_lo
	s_lshl_b64 s[14:15], s[2:3], 2
	v_add_co_u32 v0, vcc_lo, v0, v2
	s_wait_alu 0xfffd
	s_delay_alu instid0(VALU_DEP_2)
	v_add_co_ci_u32_e32 v1, vcc_lo, v1, v3, vcc_lo
	v_add_co_u32 v40, s2, s12, v77
	s_wait_alu 0xfffe
	v_add_co_u32 v2, vcc_lo, v0, s14
	s_wait_alu 0xfffd
	v_add_co_ci_u32_e32 v3, vcc_lo, s15, v1, vcc_lo
	global_load_b32 v4, v[0:1], off
	v_add_co_u32 v0, vcc_lo, v2, s14
	s_wait_alu 0xfffd
	v_add_co_ci_u32_e32 v1, vcc_lo, s15, v3, vcc_lo
	global_load_b32 v5, v[2:3], off
	global_load_b32 v90, v77, s[12:13] offset:3600
	global_load_b32 v6, v[0:1], off
	v_add_co_u32 v0, vcc_lo, v0, s14
	s_wait_alu 0xfffd
	v_add_co_ci_u32_e32 v1, vcc_lo, s15, v1, vcc_lo
	v_add_co_ci_u32_e64 v41, null, s13, 0, s2
	s_delay_alu instid0(VALU_DEP_3) | instskip(SKIP_1) | instid1(VALU_DEP_3)
	v_add_co_u32 v2, vcc_lo, v0, s14
	s_wait_alu 0xfffd
	v_add_co_ci_u32_e32 v3, vcc_lo, s15, v1, vcc_lo
	global_load_b32 v8, v[0:1], off
	v_add_co_u32 v0, vcc_lo, v2, s14
	s_wait_alu 0xfffd
	v_add_co_ci_u32_e32 v1, vcc_lo, s15, v3, vcc_lo
	global_load_b32 v9, v[2:3], off
	global_load_b32 v10, v[0:1], off
	v_add_co_u32 v0, vcc_lo, v0, s14
	s_wait_alu 0xfffd
	v_add_co_ci_u32_e32 v1, vcc_lo, s15, v1, vcc_lo
	s_delay_alu instid0(VALU_DEP_2) | instskip(SKIP_1) | instid1(VALU_DEP_2)
	v_add_co_u32 v2, vcc_lo, v0, s14
	s_wait_alu 0xfffd
	v_add_co_ci_u32_e32 v3, vcc_lo, s15, v1, vcc_lo
	global_load_b32 v11, v[0:1], off
	global_load_b32 v12, v[2:3], off
	v_add_co_u32 v0, vcc_lo, v2, s14
	s_wait_alu 0xfffd
	v_add_co_ci_u32_e32 v1, vcc_lo, s15, v3, vcc_lo
	s_delay_alu instid0(VALU_DEP_2) | instskip(SKIP_1) | instid1(VALU_DEP_2)
	v_add_co_u32 v2, vcc_lo, v0, s14
	s_wait_alu 0xfffd
	v_add_co_ci_u32_e32 v3, vcc_lo, s15, v1, vcc_lo
	global_load_b32 v13, v[0:1], off
	v_add_co_u32 v0, vcc_lo, v2, s14
	s_wait_alu 0xfffd
	v_add_co_ci_u32_e32 v1, vcc_lo, s15, v3, vcc_lo
	global_load_b32 v14, v[2:3], off
	;; [unrolled: 4-line block ×4, first 2 shown]
	global_load_b32 v17, v[0:1], off
	v_mul_hi_u32 v2, 0xaaaaaaab, v44
	s_load_b128 s[4:7], s[6:7], 0x0
	v_cmp_gt_u16_e32 vcc_lo, 36, v7
	s_delay_alu instid0(VALU_DEP_2) | instskip(NEXT) | instid1(VALU_DEP_1)
	v_lshrrev_b32_e32 v2, 1, v2
	v_lshl_add_u32 v2, v2, 1, v2
	s_delay_alu instid0(VALU_DEP_1) | instskip(NEXT) | instid1(VALU_DEP_1)
	v_sub_nc_u32_e32 v2, v44, v2
	v_mul_u32_u24_e32 v74, 0x3cf, v2
	s_delay_alu instid0(VALU_DEP_1) | instskip(NEXT) | instid1(VALU_DEP_1)
	v_lshlrev_b32_e32 v116, 2, v74
	v_add_nc_u32_e32 v89, v77, v116
	s_delay_alu instid0(VALU_DEP_1)
	v_add_nc_u32_e32 v2, 0x400, v89
	v_add_nc_u32_e32 v3, 0x600, v89
	s_wait_loadcnt 0x19
	v_lshrrev_b32_e32 v20, 16, v113
	s_wait_loadcnt 0x18
	v_lshrrev_b32_e32 v34, 16, v111
	;; [unrolled: 2-line block ×13, first 2 shown]
	v_mul_f16_e32 v19, v20, v4
	s_wait_loadcnt 0xc
	v_lshrrev_b32_e32 v21, 16, v5
	s_delay_alu instid0(VALU_DEP_3)
	v_mul_f16_e32 v20, v20, v18
	v_mul_f16_e32 v22, v34, v5
	v_fma_f16 v18, v113, v18, -v19
	s_wait_loadcnt 0xa
	v_lshrrev_b32_e32 v19, 16, v6
	v_lshrrev_b32_e32 v24, 16, v90
	v_fmac_f16_e32 v20, v113, v4
	v_mul_f16_e32 v4, v34, v21
	v_fma_f16 v21, v111, v21, -v22
	v_mul_f16_e32 v22, v23, v6
	s_delay_alu instid0(VALU_DEP_4) | instskip(NEXT) | instid1(VALU_DEP_4)
	v_pack_b32_f16 v18, v20, v18
	v_fmac_f16_e32 v4, v111, v5
	v_mul_f16_e32 v5, v23, v19
	s_wait_loadcnt 0x9
	v_lshrrev_b32_e32 v20, 16, v8
	v_mul_f16_e32 v23, v33, v8
	v_fma_f16 v19, v109, v19, -v22
	v_pack_b32_f16 v4, v4, v21
	v_fmac_f16_e32 v5, v109, v6
	v_mul_f16_e32 v6, v33, v20
	s_wait_loadcnt 0x8
	v_lshrrev_b32_e32 v21, 16, v9
	v_fma_f16 v20, v107, v20, -v23
	v_mul_f16_e32 v22, v32, v9
	ds_store_2addr_b32 v89, v18, v4 offset1:75
	v_pack_b32_f16 v4, v5, v19
	v_fmac_f16_e32 v6, v107, v8
	v_mul_f16_e32 v5, v32, v21
	s_wait_loadcnt 0x7
	v_lshrrev_b32_e32 v8, 16, v10
	v_mul_f16_e32 v18, v31, v10
	v_fma_f16 v19, v105, v21, -v22
	v_pack_b32_f16 v6, v6, v20
	v_fmac_f16_e32 v5, v105, v9
	v_mul_f16_e32 v9, v31, v8
	v_fma_f16 v8, v103, v8, -v18
	s_wait_loadcnt 0x6
	v_lshrrev_b32_e32 v18, 16, v11
	v_mul_f16_e32 v20, v30, v11
	ds_store_2addr_b32 v89, v4, v6 offset0:150 offset1:225
	v_pack_b32_f16 v4, v5, v19
	v_fmac_f16_e32 v9, v103, v10
	v_mul_f16_e32 v5, v30, v18
	s_wait_loadcnt 0x5
	v_lshrrev_b32_e32 v6, 16, v12
	v_mul_f16_e32 v10, v29, v12
	v_fma_f16 v18, v101, v18, -v20
	v_pack_b32_f16 v8, v9, v8
	v_fmac_f16_e32 v5, v101, v11
	v_mul_f16_e32 v9, v29, v6
	v_fma_f16 v6, v100, v6, -v10
	s_wait_loadcnt 0x4
	v_lshrrev_b32_e32 v10, 16, v13
	v_mul_f16_e32 v11, v28, v13
	ds_store_2addr_b32 v2, v4, v8 offset0:44 offset1:119
	v_pack_b32_f16 v8, v5, v18
	v_fmac_f16_e32 v9, v100, v12
	v_mul_f16_e32 v4, v28, v10
	s_wait_loadcnt 0x3
	v_lshrrev_b32_e32 v5, 16, v14
	v_fma_f16 v10, v98, v10, -v11
	v_mul_f16_e32 v11, v27, v14
	v_pack_b32_f16 v6, v9, v6
	v_fmac_f16_e32 v4, v98, v13
	v_mul_f16_e32 v9, v27, v5
	s_wait_loadcnt 0x2
	v_lshrrev_b32_e32 v12, 16, v15
	v_fma_f16 v5, v96, v5, -v11
	v_mul_f16_e32 v11, v26, v15
	v_pack_b32_f16 v10, v4, v10
	v_fmac_f16_e32 v9, v96, v14
	s_wait_loadcnt 0x1
	v_lshrrev_b32_e32 v4, 16, v16
	s_wait_loadcnt 0x0
	v_lshrrev_b32_e32 v14, 16, v17
	v_mul_f16_e32 v13, v26, v12
	v_fma_f16 v11, v94, v12, -v11
	v_mul_f16_e32 v12, v25, v16
	v_pack_b32_f16 v9, v9, v5
	v_mul_f16_e32 v5, v25, v4
	v_mul_f16_e32 v18, v24, v14
	;; [unrolled: 1-line block ×3, first 2 shown]
	v_fma_f16 v12, v91, v4, -v12
	v_fmac_f16_e32 v13, v94, v15
	v_fmac_f16_e32 v5, v91, v16
	;; [unrolled: 1-line block ×3, first 2 shown]
	v_fma_f16 v14, v90, v14, -v19
	v_add_nc_u32_e32 v4, 0x800, v89
	v_pack_b32_f16 v11, v13, v11
	v_pack_b32_f16 v12, v5, v12
	v_add_nc_u32_e32 v5, 0xa00, v89
	v_pack_b32_f16 v13, v18, v14
	ds_store_2addr_b32 v3, v8, v6 offset0:66 offset1:141
	ds_store_2addr_b32 v4, v10, v9 offset0:88 offset1:163
	;; [unrolled: 1-line block ×3, first 2 shown]
	ds_store_b32 v89, v13 offset:3600
	s_and_saveexec_b32 s3, vcc_lo
	s_cbranch_execz .LBB0_3
; %bb.2:
	v_mad_co_u64_u32 v[0:1], null, 0xfffff28c, s8, v[0:1]
	s_mul_i32 s2, s9, 0xfffff28c
	s_wait_alu 0xfffe
	s_sub_co_i32 s2, s2, s8
	s_wait_alu 0xfffe
	s_delay_alu instid0(VALU_DEP_1) | instskip(NEXT) | instid1(VALU_DEP_2)
	v_add_nc_u32_e32 v1, s2, v1
	v_add_co_u32 v6, s2, v0, s14
	s_wait_alu 0xf1ff
	s_delay_alu instid0(VALU_DEP_2)
	v_add_co_ci_u32_e64 v7, s2, s15, v1, s2
	s_clause 0x7
	global_load_b32 v10, v[40:41], off offset:156
	global_load_b32 v11, v[40:41], off offset:456
	;; [unrolled: 1-line block ×8, first 2 shown]
	global_load_b32 v18, v[0:1], off
	global_load_b32 v19, v[6:7], off
	s_clause 0x3
	global_load_b32 v20, v[40:41], off offset:2556
	global_load_b32 v21, v[40:41], off offset:2856
	;; [unrolled: 1-line block ×4, first 2 shown]
	v_add_co_u32 v0, s2, v6, s14
	s_wait_alu 0xf1ff
	v_add_co_ci_u32_e64 v1, s2, s15, v7, s2
	global_load_b32 v24, v[40:41], off offset:3756
	v_add_co_u32 v6, s2, v0, s14
	s_wait_alu 0xf1ff
	v_add_co_ci_u32_e64 v7, s2, s15, v1, s2
	global_load_b32 v25, v[0:1], off
	global_load_b32 v26, v[6:7], off
	v_add_co_u32 v0, s2, v6, s14
	s_wait_alu 0xf1ff
	v_add_co_ci_u32_e64 v1, s2, s15, v7, s2
	s_delay_alu instid0(VALU_DEP_2) | instskip(SKIP_1) | instid1(VALU_DEP_2)
	v_add_co_u32 v6, s2, v0, s14
	s_wait_alu 0xf1ff
	v_add_co_ci_u32_e64 v7, s2, s15, v1, s2
	global_load_b32 v27, v[0:1], off
	global_load_b32 v28, v[6:7], off
	v_add_co_u32 v0, s2, v6, s14
	s_wait_alu 0xf1ff
	v_add_co_ci_u32_e64 v1, s2, s15, v7, s2
	s_delay_alu instid0(VALU_DEP_2) | instskip(SKIP_1) | instid1(VALU_DEP_2)
	v_add_co_u32 v6, s2, v0, s14
	s_wait_alu 0xf1ff
	v_add_co_ci_u32_e64 v7, s2, s15, v1, s2
	global_load_b32 v29, v[0:1], off
	v_add_co_u32 v0, s2, v6, s14
	s_wait_alu 0xf1ff
	v_add_co_ci_u32_e64 v1, s2, s15, v7, s2
	global_load_b32 v30, v[6:7], off
	v_add_co_u32 v6, s2, v0, s14
	s_wait_alu 0xf1ff
	v_add_co_ci_u32_e64 v7, s2, s15, v1, s2
	global_load_b32 v31, v[0:1], off
	v_add_co_u32 v0, s2, v6, s14
	s_wait_alu 0xf1ff
	v_add_co_ci_u32_e64 v1, s2, s15, v7, s2
	global_load_b32 v32, v[6:7], off
	v_add_co_u32 v6, s2, v0, s14
	s_wait_alu 0xf1ff
	v_add_co_ci_u32_e64 v7, s2, s15, v1, s2
	s_delay_alu instid0(VALU_DEP_2) | instskip(SKIP_1) | instid1(VALU_DEP_2)
	v_add_co_u32 v8, s2, v6, s14
	s_wait_alu 0xf1ff
	v_add_co_ci_u32_e64 v9, s2, s15, v7, s2
	global_load_b32 v0, v[0:1], off
	global_load_b32 v1, v[6:7], off
	;; [unrolled: 1-line block ×3, first 2 shown]
	v_add_nc_u32_e32 v7, 0x200, v89
	s_wait_loadcnt 0x19
	v_lshrrev_b32_e32 v8, 16, v10
	s_wait_loadcnt 0x18
	v_lshrrev_b32_e32 v9, 16, v11
	;; [unrolled: 2-line block ×9, first 2 shown]
	v_mul_f16_e32 v48, v8, v18
	s_wait_loadcnt 0x10
	v_lshrrev_b32_e32 v49, 16, v19
	v_mul_f16_e32 v51, v9, v19
	s_wait_loadcnt 0xf
	v_lshrrev_b32_e32 v39, 16, v20
	v_mul_f16_e32 v8, v8, v43
	v_fma_f16 v43, v10, v43, -v48
	v_mul_f16_e32 v9, v9, v49
	s_wait_loadcnt 0xe
	v_lshrrev_b32_e32 v45, 16, v21
	s_wait_loadcnt 0xd
	v_lshrrev_b32_e32 v46, 16, v22
	v_fmac_f16_e32 v8, v10, v18
	v_fma_f16 v18, v11, v49, -v51
	v_fmac_f16_e32 v9, v11, v19
	s_wait_loadcnt 0xc
	v_lshrrev_b32_e32 v47, 16, v23
	s_wait_loadcnt 0xb
	v_lshrrev_b32_e32 v50, 16, v24
	v_pack_b32_f16 v8, v8, v43
	s_wait_loadcnt 0xa
	v_lshrrev_b32_e32 v10, 16, v25
	v_mul_f16_e32 v48, v33, v25
	s_wait_loadcnt 0x9
	v_lshrrev_b32_e32 v19, 16, v26
	v_pack_b32_f16 v9, v9, v18
	v_mul_f16_e32 v11, v33, v10
	v_mul_f16_e32 v33, v34, v26
	v_fma_f16 v10, v12, v10, -v48
	ds_store_2addr_b32 v89, v8, v9 offset0:39 offset1:114
	v_fmac_f16_e32 v11, v12, v25
	v_mul_f16_e32 v12, v34, v19
	v_fma_f16 v18, v13, v19, -v33
	s_wait_loadcnt 0x8
	v_lshrrev_b32_e32 v19, 16, v27
	v_mul_f16_e32 v25, v35, v27
	v_pack_b32_f16 v8, v11, v10
	v_fmac_f16_e32 v12, v13, v26
	s_wait_loadcnt 0x7
	v_lshrrev_b32_e32 v10, 16, v28
	v_mul_f16_e32 v9, v35, v19
	v_mul_f16_e32 v11, v36, v28
	v_fma_f16 v13, v14, v19, -v25
	v_pack_b32_f16 v12, v12, v18
	s_delay_alu instid0(VALU_DEP_4)
	v_fmac_f16_e32 v9, v14, v27
	v_mul_f16_e32 v14, v36, v10
	v_fma_f16 v10, v15, v10, -v11
	s_wait_loadcnt 0x6
	v_lshrrev_b32_e32 v11, 16, v29
	v_mul_f16_e32 v18, v37, v29
	ds_store_2addr_b32 v7, v8, v12 offset0:61 offset1:136
	v_fmac_f16_e32 v14, v15, v28
	v_pack_b32_f16 v7, v9, v13
	v_mul_f16_e32 v8, v37, v11
	s_wait_loadcnt 0x5
	v_lshrrev_b32_e32 v9, 16, v30
	v_fma_f16 v11, v16, v11, -v18
	v_mul_f16_e32 v12, v38, v30
	v_pack_b32_f16 v10, v14, v10
	v_fmac_f16_e32 v8, v16, v29
	s_wait_loadcnt 0x4
	v_lshrrev_b32_e32 v14, 16, v31
	v_mul_f16_e32 v13, v38, v9
	v_fma_f16 v9, v17, v9, -v12
	v_mul_f16_e32 v12, v39, v31
	v_pack_b32_f16 v8, v8, v11
	v_mul_f16_e32 v11, v39, v14
	v_fmac_f16_e32 v13, v17, v30
	s_wait_loadcnt 0x3
	v_lshrrev_b32_e32 v15, 16, v32
	v_mul_f16_e32 v16, v45, v32
	v_fma_f16 v12, v20, v14, -v12
	v_fmac_f16_e32 v11, v20, v31
	v_pack_b32_f16 v9, v13, v9
	v_mul_f16_e32 v13, v45, v15
	v_fma_f16 v14, v21, v15, -v16
	s_wait_loadcnt 0x2
	v_lshrrev_b32_e32 v15, 16, v0
	v_mul_f16_e32 v16, v46, v0
	v_pack_b32_f16 v11, v11, v12
	s_wait_loadcnt 0x1
	v_lshrrev_b32_e32 v12, 16, v1
	s_wait_loadcnt 0x0
	v_lshrrev_b32_e32 v17, 16, v6
	v_mul_f16_e32 v18, v46, v15
	v_fma_f16 v15, v22, v15, -v16
	v_mul_f16_e32 v16, v47, v1
	v_mul_f16_e32 v19, v47, v12
	v_fmac_f16_e32 v13, v21, v32
	v_mul_f16_e32 v20, v50, v17
	v_mul_f16_e32 v21, v50, v6
	v_fmac_f16_e32 v18, v22, v0
	v_fma_f16 v0, v23, v12, -v16
	v_fmac_f16_e32 v19, v23, v1
	v_fmac_f16_e32 v20, v24, v6
	v_fma_f16 v1, v24, v17, -v21
	v_pack_b32_f16 v6, v13, v14
	v_pack_b32_f16 v12, v18, v15
	;; [unrolled: 1-line block ×3, first 2 shown]
	v_add_nc_u32_e32 v13, 0xc00, v89
	v_pack_b32_f16 v1, v20, v1
	ds_store_2addr_b32 v2, v7, v10 offset0:83 offset1:158
	ds_store_2addr_b32 v3, v8, v9 offset0:105 offset1:180
	;; [unrolled: 1-line block ×4, first 2 shown]
	ds_store_b32 v89, v1 offset:3756
.LBB0_3:
	s_wait_alu 0xfffe
	s_or_b32 exec_lo, exec_lo, s3
	global_wb scope:SCOPE_SE
	s_wait_dscnt 0x0
	s_wait_kmcnt 0x0
	s_barrier_signal -1
	s_barrier_wait -1
	global_inv scope:SCOPE_SE
	ds_load_2addr_b32 v[12:13], v89 offset1:75
	ds_load_2addr_b32 v[20:21], v89 offset0:150 offset1:225
	ds_load_2addr_b32 v[16:17], v2 offset0:44 offset1:119
	;; [unrolled: 1-line block ×5, first 2 shown]
	ds_load_b32 v70, v89 offset:3600
	s_load_b64 s[2:3], s[0:1], 0x8
	v_dual_mov_b32 v43, s16 :: v_dual_mov_b32 v2, 0
                                        ; implicit-def: $vgpr24
                                        ; implicit-def: $vgpr1
                                        ; implicit-def: $vgpr5
                                        ; implicit-def: $vgpr7
                                        ; implicit-def: $vgpr9
                                        ; implicit-def: $vgpr11
	s_and_saveexec_b32 s0, vcc_lo
	s_cbranch_execz .LBB0_5
; %bb.4:
	v_add_nc_u32_e32 v0, 0x200, v89
	v_add_nc_u32_e32 v1, 0x400, v89
	;; [unrolled: 1-line block ×5, first 2 shown]
	ds_load_2addr_b32 v[2:3], v89 offset0:39 offset1:114
	ds_load_2addr_b32 v[10:11], v0 offset0:61 offset1:136
	;; [unrolled: 1-line block ×6, first 2 shown]
	ds_load_b32 v24, v89 offset:3756
.LBB0_5:
	s_wait_alu 0xfffe
	s_or_b32 exec_lo, exec_lo, s0
	s_wait_dscnt 0x0
	v_pk_add_f16 v25, v3, v24 neg_lo:[0,1] neg_hi:[0,1]
	v_pk_add_f16 v29, v24, v3
	v_pk_add_f16 v26, v10, v1 neg_lo:[0,1] neg_hi:[0,1]
	v_pk_add_f16 v30, v1, v10
	v_pk_add_f16 v27, v11, v0 neg_lo:[0,1] neg_hi:[0,1]
	v_lshrrev_b32_e32 v58, 16, v25
	v_lshrrev_b32_e32 v39, 16, v29
	;; [unrolled: 1-line block ×3, first 2 shown]
	v_mul_f16_e32 v55, 0xb770, v25
	v_lshrrev_b32_e32 v37, 16, v2
	v_mul_f16_e32 v51, 0xb770, v58
	v_lshrrev_b32_e32 v38, 16, v30
	v_mul_f16_e32 v50, 0xba95, v60
	v_mul_f16_e32 v54, 0xba95, v26
	v_lshrrev_b32_e32 v61, 16, v27
	v_fmamk_f16 v28, v29, 0x3b15, v51
	v_fma_f16 v32, v39, 0x3b15, -v55
	v_pk_add_f16 v33, v12, v13
	v_pk_add_f16 v31, v0, v11
	v_fmamk_f16 v34, v30, 0x388b, v50
	v_add_f16_e32 v35, v28, v2
	v_pk_add_f16 v28, v8, v5 neg_lo:[0,1] neg_hi:[0,1]
	v_mul_f16_e32 v53, 0xbbf1, v61
	v_fma_f16 v36, v38, 0x388b, -v54
	v_add_f16_e32 v45, v32, v37
	v_add_f16_e32 v34, v34, v35
	v_lshrrev_b32_e32 v63, 16, v28
	v_fmamk_f16 v35, v31, 0x2fb7, v53
	v_pk_add_f16 v32, v5, v8
	v_add_f16_e32 v36, v36, v45
	v_pk_add_f16 v45, v33, v20
	v_mul_f16_e32 v52, 0xbb7b, v63
	v_lshrrev_b32_e32 v47, 16, v31
	v_mul_f16_e32 v56, 0xbbf1, v27
	v_add_f16_e32 v34, v35, v34
	v_pk_add_f16 v33, v9, v4 neg_lo:[0,1] neg_hi:[0,1]
	v_fmamk_f16 v48, v32, 0xb5ac, v52
	v_pk_add_f16 v45, v45, v21
	v_fma_f16 v35, v47, 0x2fb7, -v56
	v_lshrrev_b32_e32 v46, 16, v32
	v_mul_f16_e32 v64, 0xbb7b, v28
	v_add_f16_e32 v68, v48, v34
	v_lshrrev_b32_e32 v67, 16, v33
	v_pk_add_f16 v45, v45, v16
	v_pk_add_f16 v34, v6, v7 neg_lo:[0,1] neg_hi:[0,1]
	v_add_f16_e32 v36, v35, v36
	v_fma_f16 v49, v46, 0xb5ac, -v64
	v_pk_add_f16 v35, v4, v9
	v_mul_f16_e32 v59, 0xb94e, v67
	v_pk_add_f16 v45, v45, v17
	v_lshrrev_b32_e32 v66, 16, v34
	v_add_f16_e32 v69, v49, v36
	v_lshrrev_b32_e32 v49, 16, v35
	v_mul_f16_e32 v65, 0xb94e, v33
	v_pk_add_f16 v36, v7, v6
	v_fmamk_f16 v71, v35, 0xb9fd, v59
	v_pk_add_f16 v45, v45, v14
	v_mul_f16_e32 v57, 0xb3a8, v66
	v_fma_f16 v72, v49, 0xb9fd, -v65
	v_lshrrev_b32_e32 v48, 16, v36
	v_mul_f16_e32 v62, 0xb3a8, v34
	v_pk_add_f16 v45, v45, v15
	v_add_f16_e32 v68, v71, v68
	v_fmamk_f16 v71, v36, 0xbbc4, v57
	v_add_f16_e32 v69, v72, v69
	v_fma_f16 v72, v48, 0xbbc4, -v62
	v_pk_add_f16 v78, v45, v18
	v_pk_add_f16 v124, v20, v23 neg_lo:[0,1] neg_hi:[0,1]
	v_add_f16_e32 v75, v71, v68
	v_pk_add_f16 v68, v13, v70 neg_lo:[0,1] neg_hi:[0,1]
	v_add_f16_e32 v76, v72, v69
	v_pk_add_f16 v69, v78, v19
	v_mul_lo_u16 v71, v42, 13
	v_lshrrev_b32_e32 v125, 16, v124
	v_lshrrev_b32_e32 v72, 16, v68
	v_mul_f16_e32 v81, 0xba95, v68
	v_pk_add_f16 v78, v69, v22
	v_pk_add_f16 v69, v70, v13
	v_and_b32_e32 v13, 0xffff, v71
	v_mul_f16_e32 v71, 0xb770, v72
	v_mul_f16_e32 v87, 0xbbf1, v68
	v_pk_add_f16 v78, v78, v23
	v_pk_mul_f16 v79, 0x3b15388b, v69
	v_lshl_add_u32 v118, v13, 2, v116
	v_fma_f16 v80, v69, 0x3b15, -v71
	v_fmac_f16_e32 v71, 0x3b15, v69
	v_pk_add_f16 v13, v78, v70
	v_pk_fma_f16 v70, 0xba95b770, v68, v79 op_sel:[0,0,1] op_sel_hi:[1,1,0] neg_lo:[0,1,0] neg_hi:[0,1,0]
	v_pk_fma_f16 v78, 0xba95b770, v68, v79 op_sel:[0,0,1] op_sel_hi:[1,1,0]
	v_add_f16_e32 v79, v12, v80
	v_lshrrev_b32_e32 v80, 16, v69
	v_mul_f16_e32 v119, 0xbb7b, v68
	v_mul_f16_e32 v123, 0xb94e, v68
	v_pk_add_f16 v20, v23, v20
	v_mul_f16_e32 v126, 0xba95, v125
	v_add_f16_e32 v71, v12, v71
	v_lshrrev_b32_e32 v84, 16, v12
	v_fmamk_f16 v85, v80, 0x388b, v81
	v_fma_f16 v81, v80, 0x388b, -v81
	v_fmamk_f16 v88, v80, 0x2fb7, v87
	v_fma_f16 v87, v80, 0x2fb7, -v87
	;; [unrolled: 2-line block ×4, first 2 shown]
	v_pk_mul_f16 v123, 0x388bb5ac, v20
	v_fma_f16 v128, v20, 0x388b, -v126
	v_fmac_f16_e32 v126, 0x388b, v20
	v_lshrrev_b32_e32 v129, 16, v20
	v_mul_f16_e64 v130, 0xbb7b, v124
	v_bfi_b32 v82, 0xffff, v78, v70
	v_mul_f16_e32 v83, 0xbbf1, v72
	v_add_f16_e32 v85, v84, v85
	v_pk_add_f16 v78, v12, v78 op_sel:[1,0] op_sel_hi:[0,1]
	v_mul_f16_e32 v117, 0xbb7b, v72
	v_pk_fma_f16 v127, 0xbb7bba95, v124, v123 op_sel:[0,0,1] op_sel_hi:[1,1,0] neg_lo:[0,1,0] neg_hi:[0,1,0]
	v_pk_fma_f16 v123, 0xbb7bba95, v124, v123 op_sel:[0,0,1] op_sel_hi:[1,1,0]
	v_add_f16_e32 v71, v126, v71
	v_fma_f16 v126, 0xb5ac, v129, v130
	v_mul_f16_e64 v132, 0xb3a8, v124
	v_pk_add_f16 v82, v12, v82 op_sel:[1,0] op_sel_hi:[0,1]
	v_fma_f16 v86, v69, 0x2fb7, -v83
	v_add_f16_e32 v81, v84, v81
	v_fmac_f16_e32 v83, 0x2fb7, v69
	v_add_f16_e32 v88, v84, v88
	v_fma_f16 v120, v69, 0xb5ac, -v117
	v_fmac_f16_e32 v117, 0xb5ac, v69
	v_bfi_b32 v131, 0xffff, v123, v127
	v_add_f16_e64 v79, v128, v79
	v_mul_f16_e64 v128, 0xb3a8, v125
	v_fma_f16 v130, v129, 0xb5ac, -v130
	v_add_f16_e32 v85, v126, v85
	v_pk_add_f16 v78, v123, v78
	v_fma_f16 v123, 0xbbc4, v129, v132
	v_mul_f16_e32 v126, 0x394e, v125
	v_add_f16_e32 v83, v12, v83
	v_mul_f16_e32 v72, 0xb94e, v72
	v_add_f16_e32 v120, v12, v120
	v_add_f16_e32 v117, v12, v117
	v_pk_add_f16 v82, v131, v82
	v_fma_f16 v131, v20, 0xbbc4, -v128
	v_add_f16_e64 v81, v130, v81
	v_fmac_f16_e64 v128, 0xbbc4, v20
	v_mul_f16_e64 v130, 0x394e, v124
	v_add_f16_e32 v88, v123, v88
	v_fma_f16 v123, v20, 0xb9fd, -v126
	v_fmac_f16_e32 v126, 0xb9fd, v20
	v_add_f16_e32 v121, v84, v121
	v_fma_f16 v122, v69, 0xb9fd, -v72
	v_add_f16_e32 v119, v84, v119
	v_add_f16_e64 v83, v128, v83
	v_fma_f16 v128, 0xb9fd, v129, v130
	v_mul_f16_e32 v125, 0x3bf1, v125
	v_add_f16_e32 v120, v123, v120
	v_fma_f16 v123, v129, 0xb9fd, -v130
	v_add_f16_e32 v117, v126, v117
	v_mul_f16_e32 v126, 0x3bf1, v124
	v_pk_add_f16 v130, v21, v22 neg_lo:[0,1] neg_hi:[0,1]
	v_add_f16_e32 v122, v12, v122
	v_fmac_f16_e32 v72, 0xb9fd, v69
	v_add_f16_e32 v23, v84, v23
	v_add_f16_e64 v121, v128, v121
	v_fma_f16 v128, v20, 0x2fb7, -v125
	v_add_f16_e32 v119, v123, v119
	v_pk_add_f16 v21, v22, v21
	v_fma_f16 v22, 0x2fb7, v129, v126
	v_lshrrev_b32_e32 v123, 16, v130
	v_add_f16_e32 v86, v12, v86
	v_add_f16_e32 v72, v12, v72
	;; [unrolled: 1-line block ×3, first 2 shown]
	v_add_f16_e64 v122, v128, v122
	v_fmac_f16_e32 v125, 0x2fb7, v20
	v_fma_f16 v126, v129, 0x2fb7, -v126
	v_pk_mul_f16 v128, 0x2fb7bbc4, v21
	v_add_f16_e32 v22, v22, v23
	v_mul_f16_e32 v23, 0xbbf1, v123
	v_add_f16_e32 v87, v84, v87
	v_add_f16_e64 v86, v131, v86
	v_fma_f16 v131, v129, 0xbbc4, -v132
	v_add_f16_e32 v72, v125, v72
	v_add_f16_e32 v80, v126, v80
	v_pk_fma_f16 v125, 0xb3a8bbf1, v130, v128 op_sel:[0,0,1] op_sel_hi:[1,1,0] neg_lo:[0,1,0] neg_hi:[0,1,0]
	v_pk_fma_f16 v126, 0xb3a8bbf1, v130, v128 op_sel:[0,0,1] op_sel_hi:[1,1,0]
	v_fma_f16 v128, v21, 0x2fb7, -v23
	v_add_f16_e64 v87, v131, v87
	v_fmac_f16_e32 v23, 0x2fb7, v21
	v_lshrrev_b32_e32 v129, 16, v21
	v_mul_f16_e64 v131, 0xb3a8, v130
	v_bfi_b32 v132, 0xffff, v126, v125
	v_add_f16_e64 v79, v128, v79
	v_mul_f16_e64 v128, 0x3b7b, v123
	v_add_f16_e32 v23, v23, v71
	v_fma_f16 v71, 0xbbc4, v129, v131
	v_pk_add_f16 v82, v132, v82
	v_fma_f16 v131, v129, 0xbbc4, -v131
	v_fma_f16 v132, v21, 0xb5ac, -v128
	v_mul_f16_e64 v133, 0x3b7b, v130
	v_add_f16_e32 v71, v71, v85
	v_pk_add_f16 v78, v126, v78
	v_add_f16_e64 v81, v131, v81
	v_add_f16_e64 v85, v132, v86
	v_fma_f16 v86, 0xb5ac, v129, v133
	v_fmac_f16_e64 v128, 0xb5ac, v21
	v_mul_f16_e32 v126, 0x3770, v123
	v_mul_f16_e64 v131, 0x3770, v130
	v_mul_f16_e32 v123, 0xba95, v123
	v_add_f16_e32 v86, v86, v88
	v_add_f16_e64 v83, v128, v83
	v_fma_f16 v88, v21, 0x3b15, -v126
	v_fma_f16 v128, 0x3b15, v129, v131
	v_fmac_f16_e32 v126, 0x3b15, v21
	v_fma_f16 v132, v129, 0xb5ac, -v133
	v_add_f16_e32 v70, v84, v70
	v_add_f16_e32 v88, v88, v120
	v_add_f16_e64 v120, v128, v121
	v_fma_f16 v121, v129, 0x3b15, -v131
	v_fma_f16 v128, v21, 0x388b, -v123
	v_add_f16_e32 v117, v126, v117
	v_mul_f16_e64 v126, 0xba95, v130
	v_pk_add_f16 v131, v16, v19 neg_lo:[0,1] neg_hi:[0,1]
	v_add_f16_e32 v119, v121, v119
	v_add_f16_e64 v121, v128, v122
	v_pk_add_f16 v16, v19, v16
	v_fma_f16 v19, 0x388b, v129, v126
	v_lshrrev_b32_e32 v122, 16, v131
	v_fmac_f16_e32 v123, 0x388b, v21
	v_fma_f16 v126, v129, 0x388b, -v126
	v_pk_mul_f16 v128, 0xb5acb9fd, v16
	v_add_f16_e32 v19, v19, v22
	v_mul_f16_e32 v22, 0xbb7b, v122
	v_add_f16_e32 v72, v123, v72
	v_add_f16_e32 v80, v126, v80
	v_pk_fma_f16 v123, 0x394ebb7b, v131, v128 op_sel:[0,0,1] op_sel_hi:[1,1,0] neg_lo:[0,1,0] neg_hi:[0,1,0]
	v_pk_fma_f16 v126, 0x394ebb7b, v131, v128 op_sel:[0,0,1] op_sel_hi:[1,1,0]
	v_fma_f16 v128, v16, 0xb5ac, -v22
	v_add_f16_e64 v87, v132, v87
	v_lshrrev_b32_e32 v129, 16, v16
	v_mul_f16_e64 v132, 0x394e, v131
	v_fmac_f16_e32 v22, 0xb5ac, v16
	v_bfi_b32 v133, 0xffff, v126, v123
	v_add_f16_e64 v79, v128, v79
	v_mul_f16_e64 v128, 0x3770, v122
	v_fma_f16 v134, 0xb9fd, v129, v132
	v_add_f16_e32 v22, v22, v23
	v_pk_add_f16 v23, v133, v82
	v_fma_f16 v82, v129, 0xb9fd, -v132
	v_fma_f16 v132, v16, 0x3b15, -v128
	v_pk_add_f16 v78, v126, v78
	v_mul_f16_e64 v126, 0x3770, v131
	v_fmac_f16_e64 v128, 0x3b15, v16
	v_add_f16_e32 v81, v82, v81
	v_add_f16_e64 v82, v132, v85
	v_mul_f16_e32 v85, 0xbbf1, v122
	v_mul_f16_e64 v132, 0xbbf1, v131
	v_fma_f16 v133, 0x3b15, v129, v126
	v_fma_f16 v126, v129, 0x3b15, -v126
	v_add_f16_e64 v71, v134, v71
	v_fma_f16 v134, v16, 0x2fb7, -v85
	v_add_f16_e64 v83, v128, v83
	v_fmac_f16_e32 v85, 0x2fb7, v16
	v_add_f16_e32 v87, v126, v87
	v_fma_f16 v126, v129, 0x2fb7, -v132
	v_mul_f16_e32 v122, 0x33a8, v122
	v_pk_add_f16 v128, v17, v18 neg_lo:[0,1] neg_hi:[0,1]
	v_fma_f16 v135, 0x2fb7, v129, v132
	v_mul_f16_e64 v132, 0x33a8, v131
	v_add_f16_e32 v85, v85, v117
	v_add_f16_e32 v117, v126, v119
	v_fma_f16 v119, v16, 0xbbc4, -v122
	v_lshrrev_b32_e32 v126, 16, v128
	v_pk_add_f16 v17, v18, v17
	v_add_f16_e64 v86, v133, v86
	v_fma_f16 v133, 0xbbc4, v129, v132
	v_fmac_f16_e32 v122, 0xbbc4, v16
	v_add_f16_e32 v18, v119, v121
	v_mul_f16_e32 v119, 0xb94e, v126
	v_pk_mul_f16 v121, 0xb9fd2fb7, v17
	v_add_f16_e64 v88, v134, v88
	v_add_f16_e64 v19, v133, v19
	v_add_f16_e32 v72, v122, v72
	v_fma_f16 v122, v129, 0xbbc4, -v132
	v_fma_f16 v129, v17, 0xb9fd, -v119
	v_fmac_f16_e32 v119, 0xb9fd, v17
	v_pk_fma_f16 v132, 0x3bf1b94e, v128, v121 op_sel:[0,0,1] op_sel_hi:[1,1,0] neg_lo:[0,1,0] neg_hi:[0,1,0]
	v_pk_fma_f16 v121, 0x3bf1b94e, v128, v121 op_sel:[0,0,1] op_sel_hi:[1,1,0]
	v_lshrrev_b32_e32 v133, 16, v17
	v_mul_f16_e64 v134, 0x3bf1, v128
	v_add_f16_e32 v80, v122, v80
	v_add_f16_e64 v79, v129, v79
	v_add_f16_e32 v22, v119, v22
	v_bfi_b32 v119, 0xffff, v121, v132
	v_fma_f16 v122, 0x2fb7, v133, v134
	v_fma_f16 v129, v133, 0x2fb7, -v134
	v_mul_f16_e64 v134, 0xba95, v126
	v_add_f16_e64 v120, v135, v120
	v_mul_f16_e64 v135, 0xba95, v128
	v_pk_add_f16 v23, v119, v23
	v_add_f16_e64 v81, v129, v81
	v_fma_f16 v119, v17, 0x388b, -v134
	v_mul_f16_e64 v129, 0x33a8, v126
	v_add_f16_e32 v71, v122, v71
	v_fma_f16 v122, 0x388b, v133, v135
	v_mul_f16_e64 v136, 0x33a8, v128
	v_add_f16_e32 v82, v119, v82
	v_fma_f16 v119, v17, 0xbbc4, -v129
	v_fmac_f16_e64 v129, 0xbbc4, v17
	v_fmac_f16_e64 v134, 0x388b, v17
	v_add_f16_e32 v86, v122, v86
	v_fma_f16 v122, 0xbbc4, v133, v136
	v_mul_f16_e32 v126, 0x3770, v126
	v_add_f16_e64 v85, v129, v85
	v_pk_add_f16 v129, v14, v15 neg_lo:[0,1] neg_hi:[0,1]
	v_add_f16_e64 v83, v134, v83
	v_fma_f16 v134, v133, 0x388b, -v135
	v_add_f16_e32 v88, v119, v88
	v_add_f16_e32 v119, v122, v120
	v_fma_f16 v120, v133, 0xbbc4, -v136
	v_mul_f16_e64 v135, 0x3770, v128
	v_lshrrev_b32_e32 v84, 16, v129
	v_fma_f16 v122, v17, 0x3b15, -v126
	v_pk_add_f16 v14, v15, v14
	v_add_f16_e32 v117, v120, v117
	v_fma_f16 v120, 0x3b15, v133, v135
	v_add_f16_e32 v15, v127, v70
	v_mul_f16_e32 v70, 0xb3a8, v84
	v_add_f16_e32 v18, v122, v18
	v_mul_f16_e32 v127, 0xb94e, v84
	v_add_f16_e32 v19, v120, v19
	v_fma_f16 v120, v133, 0x3b15, -v135
	v_add_f16_e32 v15, v125, v15
	v_fma_f16 v122, v14, 0xbbc4, -v70
	v_fmac_f16_e32 v70, 0xbbc4, v14
	v_pk_mul_f16 v125, 0xbbc43b15, v14
	v_add_f16_e32 v80, v120, v80
	v_add_f16_e32 v15, v123, v15
	;; [unrolled: 1-line block ×4, first 2 shown]
	v_pk_fma_f16 v70, 0x3770b3a8, v129, v125 op_sel:[0,0,1] op_sel_hi:[1,1,0] neg_lo:[0,1,0] neg_hi:[0,1,0]
	v_pk_fma_f16 v120, 0x3770b3a8, v129, v125 op_sel:[0,0,1] op_sel_hi:[1,1,0]
	v_add_f16_e64 v15, v132, v15
	v_lshrrev_b32_e32 v122, 16, v14
	v_mul_f16_e64 v123, 0x3770, v129
	v_pk_mul_f16 v69, 0xbbc4, v69 op_sel_hi:[0,1]
	v_bfi_b32 v120, 0xffff, v120, v70
	v_add_f16_e32 v15, v70, v15
	v_mul_f16_e64 v132, 0xb9fd, v122
	v_fmamk_f16 v70, v122, 0x3b15, v123
	v_fma_f16 v123, v122, 0x3b15, -v123
	v_pk_add_f16 v23, v120, v23
	v_fma_f16 v120, v14, 0xb9fd, -v127
	v_pk_mul_f16 v20, 0x3b15, v20 op_sel_hi:[0,1]
	v_add_f16_e32 v70, v70, v71
	v_add_f16_e32 v71, v123, v81
	v_mul_f16_e32 v81, 0x3a95, v84
	v_add_f16_e32 v82, v120, v82
	v_fma_f16 v120, 0xb94e, v129, v132
	v_mul_f16_e64 v123, 0x3a95, v129
	v_mul_f16_e32 v84, 0xbb7b, v84
	v_fma_f16 v133, v14, 0x388b, -v81
	v_fmac_f16_e32 v81, 0x388b, v14
	v_add_f16_e32 v86, v120, v86
	v_fmamk_f16 v120, v122, 0x388b, v123
	v_fma_f16 v123, v122, 0x388b, -v123
	v_pk_mul_f16 v21, 0xb9fd, v21 op_sel_hi:[0,1]
	v_add_f16_e32 v81, v81, v85
	v_pk_mul_f16 v16, 0x388b, v16 op_sel_hi:[0,1]
	v_fmac_f16_e32 v126, 0x3b15, v17
	v_add_f16_e32 v85, v123, v117
	v_fma_f16 v117, v14, 0xb5ac, -v84
	v_pk_fma_f16 v123, 0xb3a8, v68, v69 op_sel:[0,0,1] op_sel_hi:[0,1,0] neg_lo:[0,1,0] neg_hi:[0,1,0]
	v_pk_fma_f16 v68, 0xb3a8, v68, v69 op_sel:[0,0,1] op_sel_hi:[0,1,0]
	v_add_f16_e32 v119, v120, v119
	v_mul_f16_e64 v120, 0xbb7b, v129
	v_add_f16_e32 v18, v117, v18
	v_pk_add_f16 v117, v12, v123 op_sel:[1,0] op_sel_hi:[0,1]
	v_pk_add_f16 v12, v12, v68 op_sel:[1,0] op_sel_hi:[0,1]
	v_pk_fma_f16 v68, 0x3770, v124, v20 op_sel:[0,0,1] op_sel_hi:[0,1,0] neg_lo:[0,1,0] neg_hi:[0,1,0]
	v_pk_fma_f16 v20, 0x3770, v124, v20 op_sel:[0,0,1] op_sel_hi:[0,1,0]
	v_pk_mul_f16 v17, 0xb5ac, v17 op_sel_hi:[0,1]
	v_add_f16_e32 v72, v126, v72
	v_mul_f16_e64 v135, 0xb94e, v129
	v_pk_add_f16 v68, v68, v117
	v_pk_add_f16 v12, v20, v12
	v_pk_fma_f16 v20, 0xb94e, v130, v21 op_sel:[0,0,1] op_sel_hi:[0,1,0] neg_lo:[0,1,0] neg_hi:[0,1,0]
	v_pk_fma_f16 v21, 0xb94e, v130, v21 op_sel:[0,0,1] op_sel_hi:[0,1,0]
	v_fmamk_f16 v69, v122, 0xb5ac, v120
	v_fmac_f16_e32 v84, 0xb5ac, v14
	v_pk_mul_f16 v126, 0x3770b3a8, v129
	v_pk_add_f16 v20, v20, v68
	v_pk_add_f16 v12, v21, v12
	v_pk_fma_f16 v21, 0x3a95, v131, v16 op_sel:[0,0,1] op_sel_hi:[0,1,0] neg_lo:[0,1,0] neg_hi:[0,1,0]
	v_pk_fma_f16 v16, 0x3a95, v131, v16 op_sel:[0,0,1] op_sel_hi:[0,1,0]
	v_fmac_f16_e32 v127, 0xb9fd, v14
	v_add_f16_e32 v19, v69, v19
	v_add_f16_e32 v69, v84, v72
	v_pk_add_f16 v20, v21, v20
	v_pk_fma_f16 v21, 0xbb7b, v128, v17 op_sel:[0,0,1] op_sel_hi:[0,1,0] neg_lo:[0,1,0] neg_hi:[0,1,0]
	v_fma_f16 v72, v122, 0xb5ac, -v120
	v_pk_add_f16 v12, v16, v12
	v_pk_fma_f16 v16, 0xbb7b, v128, v17 op_sel:[0,0,1] op_sel_hi:[0,1,0]
	v_pk_mul_f16 v14, 0x2fb7, v14 op_sel_hi:[0,1]
	v_pk_add_f16 v20, v21, v20
	v_bfi_b32 v21, 0xffff, v135, v78
	v_add_f16_e32 v68, v72, v80
	v_alignbit_b32 v70, v70, v23, 16
	v_pack_b32_f16 v17, v79, v23
	v_pk_add_f16 v12, v16, v12
	v_pk_fma_f16 v16, 0x3bf1, v129, v14 op_sel:[0,0,1] op_sel_hi:[0,1,0] neg_lo:[0,1,0] neg_hi:[0,1,0]
	v_pack_b32_f16 v23, v134, v125
	v_bfi_b32 v72, 0xffff, v87, v126
	v_pk_add_f16 v21, v132, v21 neg_lo:[0,1] neg_hi:[0,1]
	v_pk_add_f16 v78, v121, v78
	v_pk_fma_f16 v14, 0x3bf1, v129, v14 op_sel:[0,0,1] op_sel_hi:[0,1,0]
	v_pack_b32_f16 v18, v18, v19
	v_pk_add_f16 v16, v16, v20
	v_pk_add_f16 v19, v23, v72
	v_bfi_b32 v20, 0xffff, v21, v78
	v_add_co_u32 v73, s0, v42, 39
	v_add_f16_e64 v88, v133, v88
	v_pk_add_f16 v12, v14, v12
	global_wb scope:SCOPE_SE
	s_wait_kmcnt 0x0
	s_barrier_signal -1
	s_barrier_wait -1
	global_inv scope:SCOPE_SE
	v_add_f16_e32 v83, v127, v83
	ds_store_2addr_b32 v118, v13, v18 offset1:5
	v_pk_add_f16 v13, v20, v19
	s_wait_alu 0xf1ff
	v_add_co_ci_u32_e64 v45, null, 0, 0, s0
	v_pack_b32_f16 v15, v22, v15
	v_mul_u32_u24_e32 v22, 13, v73
	v_pack_b32_f16 v14, v88, v119
	v_pack_b32_f16 v21, v82, v86
	v_alignbit_b32 v18, v16, v12, 16
	v_alignbit_b32 v12, v12, v16, 16
	v_pack_b32_f16 v16, v81, v85
	v_pack_b32_f16 v19, v69, v68
	v_alignbit_b32 v20, v71, v13, 16
	v_pack_b32_f16 v13, v83, v13
	scratch_store_b32 off, v22, off offset:4 ; 4-byte Folded Spill
	ds_store_2addr_b32 v118, v17, v70 offset0:1 offset1:2
	ds_store_2addr_b32 v118, v21, v14 offset0:3 offset1:4
	;; [unrolled: 1-line block ×5, first 2 shown]
	ds_store_b32 v118, v15 offset:48
	s_and_saveexec_b32 s0, vcc_lo
	s_cbranch_execz .LBB0_7
; %bb.6:
	v_mul_f16_e32 v12, 0xb94e, v25
	v_mul_f16_e32 v16, 0x3bf1, v26
	;; [unrolled: 1-line block ×5, first 2 shown]
	v_fmamk_f16 v17, v39, 0xb9fd, v12
	v_fmamk_f16 v21, v38, 0x2fb7, v16
	;; [unrolled: 1-line block ×5, first 2 shown]
	v_add_f16_e32 v17, v17, v37
	v_mul_f16_e32 v83, 0xbb7b, v25
	v_mul_f16_e32 v85, 0xbb7b, v34
	v_mul_f16_e32 v81, 0x3bf1, v60
	v_mul_f16_e32 v87, 0x394e, v26
	v_add_f16_e32 v17, v21, v17
	v_fmamk_f16 v86, v39, 0xb5ac, v83
	v_fmamk_f16 v125, v48, 0xb5ac, v85
	v_mul_f16_e32 v84, 0xba95, v61
	v_fmamk_f16 v119, v38, 0xb9fd, v87
	v_add_f16_e32 v17, v69, v17
	v_mul_f16_e32 v69, 0xb94e, v58
	v_add_f16_e32 v86, v86, v37
	v_mul_f16_e32 v120, 0x3770, v27
	v_mul_f16_e32 v88, 0x33a8, v63
	v_add_f16_e32 v17, v72, v17
	v_fma_f16 v72, v29, 0xb9fd, -v69
	v_add_f16_e32 v86, v119, v86
	v_fmamk_f16 v119, v47, 0x3b15, v120
	v_mul_f16_e32 v122, 0xbbf1, v28
	v_add_f16_e32 v17, v80, v17
	v_add_f16_e32 v72, v72, v2
	v_fma_f16 v80, v30, 0x2fb7, -v81
	v_mul_f16_e64 v132, 0xb3a8, v26
	v_mul_f16_e32 v121, 0x3770, v67
	v_add_f16_e32 v17, v125, v17
	v_mul_f16_e32 v125, 0xbbf1, v25
	v_add_f16_e32 v72, v80, v72
	v_fma_f16 v80, v31, 0x388b, -v84
	v_add_f16_e32 v86, v119, v86
	v_fmamk_f16 v119, v46, 0x2fb7, v122
	v_fma_f16 v131, 0x2fb7, v39, v125
	v_mul_f16_e32 v124, 0x33a8, v33
	v_add_f16_e32 v72, v80, v72
	v_fma_f16 v80, v32, 0xbbc4, -v88
	v_fma_f16 v135, 0xbbc4, v38, v132
	v_add_f16_e64 v131, v131, v37
	v_mul_f16_e64 v136, 0x3b7b, v27
	v_mul_f16_e32 v123, 0xbb7b, v66
	v_add_f16_e32 v72, v80, v72
	v_fma_f16 v80, v35, 0x3b15, -v121
	v_add_f16_e32 v86, v119, v86
	v_fmamk_f16 v119, v49, 0xbbc4, v124
	v_add_f16_e64 v131, v135, v131
	v_fma_f16 v135, 0xb5ac, v47, v136
	v_mul_f16_e64 v138, 0x3770, v28
	v_mul_f16_e32 v14, 0x3b15, v29
	v_add_f16_e32 v72, v80, v72
	v_fma_f16 v80, v36, 0xb5ac, -v123
	v_add_f16_e32 v86, v119, v86
	v_mul_f16_e32 v119, 0x388b, v48
	v_add_f16_e64 v131, v135, v131
	v_fma_f16 v135, 0x3b15, v46, v138
	v_mul_f16_e64 v140, 0xba95, v33
	v_mul_f16_e32 v18, 0x388b, v30
	v_add_f16_e32 v72, v80, v72
	v_mul_f16_e32 v80, 0xbb7b, v58
	v_fma_f16 v130, 0x3a95, v34, v119
	v_add_f16_e64 v131, v135, v131
	v_fma_f16 v135, 0x388b, v49, v140
	v_mul_f16_e64 v142, 0xb94e, v34
	v_mul_f16_e32 v58, 0xba95, v58
	v_sub_f16_e32 v14, v14, v51
	v_fma_f16 v12, v39, 0xb9fd, -v12
	v_mul_f16_e32 v22, 0x2fb7, v31
	v_mul_f16_e64 v129, 0x394e, v60
	v_add_f16_e64 v131, v135, v131
	v_fma_f16 v135, 0xb9fd, v48, v142
	v_add_f16_e64 v86, v130, v86
	v_fma_f16 v130, v29, 0x388b, -v58
	v_mul_f16_e32 v60, 0xbb7b, v60
	v_add_f16_e32 v14, v14, v2
	v_sub_f16_e32 v18, v18, v50
	v_add_f16_e32 v12, v12, v37
	v_fma_f16 v16, v38, 0x2fb7, -v16
	v_mul_f16_e32 v15, 0x3b15, v39
	v_mul_f16_e32 v21, 0xb5ac, v32
	v_mul_f16_e64 v134, 0x3770, v61
	v_add_f16_e64 v131, v135, v131
	v_add_f16_e64 v130, v130, v2
	v_fma_f16 v135, v30, 0xb5ac, -v60
	v_mul_f16_e32 v61, 0xb3a8, v61
	v_add_f16_e32 v14, v18, v14
	v_sub_f16_e32 v18, v22, v53
	v_add_f16_e32 v12, v16, v12
	v_fma_f16 v16, v47, 0x388b, -v20
	v_mul_f16_e32 v19, 0x388b, v38
	v_mul_f16_e32 v78, 0xb9fd, v35
	v_fma_f16 v128, v29, 0xb5ac, -v80
	v_mul_f16_e64 v137, 0xbbf1, v63
	v_add_f16_e64 v130, v135, v130
	v_fma_f16 v135, v31, 0xbbc4, -v61
	v_mul_f16_e32 v63, 0x394e, v63
	v_add_f16_e32 v15, v55, v15
	v_add_f16_e32 v14, v18, v14
	v_sub_f16_e32 v18, v21, v52
	v_fmac_f16_e32 v69, 0xb9fd, v29
	v_add_f16_e32 v12, v16, v12
	v_fma_f16 v16, v46, 0xbbc4, -v68
	v_mul_f16_e32 v23, 0x2fb7, v47
	v_mul_f16_e32 v82, 0xbbc4, v36
	v_add_f16_e64 v128, v128, v2
	v_fma_f16 v133, v30, 0xb9fd, -v129
	v_mul_f16_e64 v139, 0x33a8, v67
	v_add_f16_e64 v130, v135, v130
	v_fma_f16 v135, v32, 0xb9fd, -v63
	v_add_f16_e32 v15, v15, v37
	v_add_f16_e32 v19, v54, v19
	v_mul_f16_e32 v67, 0x3bf1, v67
	v_add_f16_e32 v14, v18, v14
	v_sub_f16_e32 v18, v78, v59
	v_add_f16_e32 v20, v69, v2
	v_fmac_f16_e32 v81, 0x2fb7, v30
	v_add_f16_e32 v12, v16, v12
	v_fma_f16 v16, v49, 0x3b15, -v71
	v_add_f16_e64 v128, v133, v128
	v_fma_f16 v133, v31, 0x3b15, -v134
	v_add_f16_e64 v51, v135, v130
	v_add_f16_e32 v15, v19, v15
	v_add_f16_e32 v19, v56, v23
	v_fma_f16 v23, v35, 0x2fb7, -v67
	v_mul_f16_e32 v50, 0x3770, v66
	v_add_f16_e32 v14, v18, v14
	v_sub_f16_e32 v18, v82, v57
	v_add_f16_e32 v20, v81, v20
	v_fmac_f16_e32 v84, 0x388b, v31
	v_add_f16_e32 v12, v16, v12
	v_fma_f16 v16, v39, 0xb5ac, -v83
	v_add_f16_e64 v128, v133, v128
	v_fma_f16 v133, v32, 0x2fb7, -v137
	v_add_f16_e32 v23, v23, v51
	v_fma_f16 v22, v36, 0x3b15, -v50
	v_add_f16_e32 v14, v18, v14
	v_add_f16_e32 v18, v84, v20
	;; [unrolled: 1-line block ×3, first 2 shown]
	v_fma_f16 v20, v38, 0xb9fd, -v87
	v_add_f16_e64 v128, v133, v128
	v_fma_f16 v133, v35, 0xbbc4, -v139
	v_mul_f16_e64 v141, 0x3a95, v66
	v_add_f16_e32 v21, v22, v23
	v_add_f16_e32 v16, v20, v16
	v_fma_f16 v20, v47, 0x3b15, -v120
	v_fma_f16 v22, v39, 0x2fb7, -v125
	v_add_f16_e64 v128, v133, v128
	v_fma_f16 v133, v36, 0x388b, -v141
	v_alignbit_b32 v13, v2, v2, 16
	v_add_f16_e32 v16, v20, v16
	v_add_f16_e32 v20, v22, v37
	v_fma_f16 v22, v38, 0xbbc4, -v132
	v_add_f16_e64 v128, v133, v128
	v_pk_mul_f16 v133, 0x388b2fb7, v29
	v_fma_f16 v23, v46, 0x2fb7, -v122
	v_pk_mul_f16 v143, 0xb5acbbc4, v30
	v_add_f16_e32 v20, v22, v20
	v_fma_f16 v22, v47, 0xb5ac, -v136
	v_pk_add_f16 v3, v3, v13 op_sel:[0,1] op_sel_hi:[1,0]
	v_add_f16_e32 v16, v23, v16
	v_pk_fma_f16 v23, 0xbbf1ba95, v25, v133 op_sel:[0,0,1] op_sel_hi:[1,1,0]
	v_pk_mul_f16 v144, 0xbbc4b5ac, v31
	v_add_f16_e32 v20, v22, v20
	v_fma_f16 v22, v46, 0x3b15, -v138
	v_pk_fma_f16 v39, 0xb3a8bb7b, v26, v143 op_sel:[0,0,1] op_sel_hi:[1,1,0]
	v_pk_add_f16 v38, v23, v13
	v_pk_add_f16 v3, v10, v3
	v_mul_f16_e32 v70, 0xb5ac, v46
	v_add_f16_e32 v20, v22, v20
	v_fma_f16 v22, v49, 0x388b, -v140
	v_pk_mul_f16 v145, 0xb9fd3b15, v32
	v_pk_add_f16 v38, v39, v38
	v_pk_fma_f16 v46, 0x3b7bb3a8, v27, v144 op_sel:[0,0,1] op_sel_hi:[1,1,0]
	v_pk_add_f16 v3, v11, v3
	v_add_f16_e32 v10, v22, v20
	v_fma_f16 v20, v48, 0xb9fd, -v142
	v_pk_fma_f16 v11, 0x3770394e, v28, v145 op_sel:[0,0,1] op_sel_hi:[1,1,0]
	v_pk_add_f16 v22, v46, v38
	v_pk_add_f16 v3, v8, v3
	v_mul_f16_e32 v79, 0xb9fd, v49
	v_add_f16_e32 v10, v20, v10
	v_pk_fma_f16 v20, 0xbbf1ba95, v25, v133 op_sel:[0,0,1] op_sel_hi:[1,1,0] neg_lo:[0,1,0] neg_hi:[0,1,0]
	v_add_f16_e32 v15, v19, v15
	v_add_f16_e32 v19, v64, v70
	v_pk_add_f16 v8, v11, v22
	v_pk_fma_f16 v22, 0xb3a8bb7b, v26, v143 op_sel:[0,0,1] op_sel_hi:[1,1,0] neg_lo:[0,1,0] neg_hi:[0,1,0]
	v_add_f16_e32 v38, v20, v13
	v_pk_add_f16 v3, v9, v3
	v_mul_f16_e32 v126, 0xbbc4, v48
	v_add_f16_e32 v15, v19, v15
	v_add_f16_e32 v19, v65, v79
	v_pk_fma_f16 v47, 0x3b7bb3a8, v27, v144 op_sel:[0,0,1] op_sel_hi:[1,1,0] neg_lo:[0,1,0] neg_hi:[0,1,0]
	v_add_f16_e32 v38, v22, v38
	v_pk_add_f16 v3, v6, v3
	v_pk_mul_f16 v55, 0x2fb7388b, v35
	v_add_f16_e32 v15, v19, v15
	v_add_f16_e32 v19, v62, v126
	v_pk_fma_f16 v6, 0x3770394e, v28, v145 op_sel:[0,0,1] op_sel_hi:[1,1,0] neg_lo:[0,1,0] neg_hi:[0,1,0]
	v_pk_add_f16 v3, v7, v3
	v_add_f16_e32 v7, v47, v38
	v_pk_mul_f16 v146, 0x3b15b9fd, v36
	v_add_f16_e32 v15, v19, v15
	v_fma_f16 v19, v48, 0xb5ac, -v85
	v_pk_fma_f16 v48, 0xba953bf1, v33, v55 op_sel:[0,0,1] op_sel_hi:[1,1,0] neg_lo:[0,1,0] neg_hi:[0,1,0]
	v_pk_add_f16 v3, v4, v3
	v_bfi_b32 v4, 0xffff, v23, v20
	v_add_f16_e32 v7, v6, v7
	v_pk_fma_f16 v38, 0xb94e3770, v34, v146 op_sel:[0,0,1] op_sel_hi:[1,1,0] neg_lo:[0,1,0] neg_hi:[0,1,0]
	v_pk_fma_f16 v9, 0xba953bf1, v33, v55 op_sel:[0,0,1] op_sel_hi:[1,1,0]
	v_pk_add_f16 v3, v5, v3
	v_pk_add_f16 v4, v4, v13
	v_bfi_b32 v5, 0xffff, v39, v22
	v_add_f16_e32 v7, v48, v7
	v_fmac_f16_e32 v80, 0xb5ac, v29
	v_pk_add_f16 v0, v0, v3
	v_fmac_f16_e32 v58, 0x388b, v29
	v_pk_add_f16 v3, v5, v4
	v_bfi_b32 v4, 0xffff, v46, v47
	v_add_f16_e32 v5, v38, v7
	v_pk_mul_f16 v7, 0xbbc4, v29 op_sel_hi:[0,1]
	v_pk_add_f16 v0, v1, v0
	v_pk_mul_f16 v22, 0xb9fd, v31 op_sel_hi:[0,1]
	v_pk_add_f16 v1, v4, v3
	v_bfi_b32 v3, 0xffff, v11, v6
	v_pk_fma_f16 v6, 0xb3a8, v25, v7 op_sel:[0,0,1] op_sel_hi:[0,1,0] neg_lo:[0,1,0] neg_hi:[0,1,0]
	v_pk_mul_f16 v11, 0x3b15, v30 op_sel_hi:[0,1]
	v_pk_fma_f16 v7, 0xb3a8, v25, v7 op_sel:[0,0,1] op_sel_hi:[0,1,0]
	v_add_f16_e32 v12, v19, v12
	v_pk_add_f16 v1, v3, v1
	v_bfi_b32 v3, 0xffff, v9, v48
	v_pk_add_f16 v6, v6, v13
	v_pk_fma_f16 v20, 0x3770, v26, v11 op_sel:[0,0,1] op_sel_hi:[0,1,0] neg_lo:[0,1,0] neg_hi:[0,1,0]
	v_pk_add_f16 v7, v7, v13
	v_pk_fma_f16 v11, 0x3770, v26, v11 op_sel:[0,0,1] op_sel_hi:[0,1,0]
	v_add_f16_e32 v19, v80, v2
	v_fmac_f16_e64 v129, 0xb9fd, v30
	v_add_f16_e32 v2, v58, v2
	v_fmac_f16_e32 v60, 0xb5ac, v30
	v_pk_fma_f16 v13, 0xb94e3770, v34, v146 op_sel:[0,0,1] op_sel_hi:[1,1,0]
	v_pack_b32_f16 v14, v14, v15
	v_pk_add_f16 v1, v3, v1
	v_pk_add_f16 v3, v20, v6
	v_pk_fma_f16 v6, 0xb94e, v27, v22 op_sel:[0,0,1] op_sel_hi:[0,1,0] neg_lo:[0,1,0] neg_hi:[0,1,0]
	v_pk_mul_f16 v15, 0x388b, v32 op_sel_hi:[0,1]
	v_pk_add_f16 v7, v11, v7
	v_pk_fma_f16 v11, 0xb94e, v27, v22 op_sel:[0,0,1] op_sel_hi:[0,1,0]
	v_mul_f16_e32 v127, 0x3a95, v34
	v_add_f16_e64 v19, v129, v19
	v_fmac_f16_e64 v134, 0x3b15, v31
	v_add_f16_e32 v2, v60, v2
	v_fmac_f16_e32 v61, 0xbbc4, v31
	v_bfi_b32 v13, 0xffff, v13, v38
	v_pk_add_f16 v3, v6, v3
	v_pk_fma_f16 v6, 0x3a95, v28, v15 op_sel:[0,0,1] op_sel_hi:[0,1,0] neg_lo:[0,1,0] neg_hi:[0,1,0]
	v_pk_mul_f16 v20, 0xb5ac, v35 op_sel_hi:[0,1]
	v_pk_add_f16 v7, v11, v7
	v_pk_fma_f16 v11, 0x3a95, v28, v15 op_sel:[0,0,1] op_sel_hi:[0,1,0]
	v_fmac_f16_e32 v88, 0xbbc4, v32
	v_pk_mul_f16 v54, 0xb94e3770, v34
	v_add_f16_e64 v19, v134, v19
	v_fmac_f16_e64 v137, 0x2fb7, v32
	v_fma_f16 v37, v49, 0xbbc4, -v124
	v_add_f16_e32 v2, v61, v2
	v_fmac_f16_e32 v63, 0xb9fd, v32
	v_pk_add_f16 v1, v13, v1
	v_bfi_b32 v13, 0xffff, v127, v8
	v_pk_add_f16 v3, v6, v3
	v_pk_fma_f16 v6, 0xbb7b, v33, v20 op_sel:[0,0,1] op_sel_hi:[0,1,0] neg_lo:[0,1,0] neg_hi:[0,1,0]
	v_pk_mul_f16 v22, 0x2fb7, v36 op_sel_hi:[0,1]
	v_pk_add_f16 v7, v11, v7
	v_pk_fma_f16 v11, 0xbb7b, v33, v20 op_sel:[0,0,1] op_sel_hi:[0,1,0]
	v_add_f16_e32 v18, v88, v18
	v_fmac_f16_e32 v121, 0x3b15, v35
	v_add_f16_e64 v19, v137, v19
	v_fmac_f16_e64 v139, 0xbbc4, v35
	v_add_f16_e32 v2, v63, v2
	v_fmac_f16_e32 v67, 0x2fb7, v35
	v_pk_add_f16 v13, v119, v13 neg_lo:[0,1] neg_hi:[0,1]
	v_pk_add_f16 v8, v9, v8
	v_pack_b32_f16 v9, v37, v146
	v_bfi_b32 v15, 0xffff, v16, v54
	v_pk_add_f16 v3, v6, v3
	v_pk_fma_f16 v6, 0x3bf1, v34, v22 op_sel:[0,0,1] op_sel_hi:[0,1,0] neg_lo:[0,1,0] neg_hi:[0,1,0]
	v_pk_add_f16 v7, v11, v7
	v_pk_fma_f16 v11, 0x3bf1, v34, v22 op_sel:[0,0,1] op_sel_hi:[0,1,0]
	v_add_f16_e32 v18, v121, v18
	v_fmac_f16_e32 v123, 0xb5ac, v36
	v_add_f16_e64 v19, v139, v19
	v_fmac_f16_e64 v141, 0x388b, v36
	v_add_f16_e32 v2, v67, v2
	v_fmac_f16_e32 v50, 0x3b15, v36
	v_mul_u32_u24_e32 v4, 13, v73
	v_bfi_b32 v8, 0xffff, v13, v8
	v_pk_add_f16 v9, v9, v15
	v_pk_add_f16 v3, v6, v3
	;; [unrolled: 1-line block ×3, first 2 shown]
	v_add_f16_e32 v18, v123, v18
	v_add_f16_e64 v19, v141, v19
	v_add_f16_e32 v2, v50, v2
	v_lshl_add_u32 v4, v4, 2, v116
	v_pk_add_f16 v0, v24, v0
	v_pk_add_f16 v8, v8, v9
	v_alignbit_b32 v16, v131, v1, 16
	v_pack_b32_f16 v1, v21, v1
	v_pack_b32_f16 v7, v72, v17
	;; [unrolled: 1-line block ×3, first 2 shown]
	v_alignbit_b32 v11, v3, v6, 16
	v_alignbit_b32 v3, v6, v3, 16
	v_pack_b32_f16 v6, v18, v12
	v_alignbit_b32 v10, v10, v8, 16
	v_pack_b32_f16 v8, v19, v8
	v_pack_b32_f16 v2, v2, v5
	v_perm_b32 v5, v76, v75, 0x5040100
	ds_store_2addr_b32 v4, v0, v14 offset1:1
	ds_store_2addr_b32 v4, v1, v16 offset0:2 offset1:3
	ds_store_2addr_b32 v4, v9, v7 offset0:4 offset1:5
	ds_store_2addr_b32 v4, v3, v11 offset0:6 offset1:7
	ds_store_b32 v4, v6 offset:32
	ds_store_2addr_b32 v4, v8, v10 offset0:9 offset1:10
	ds_store_2addr_b32 v4, v2, v5 offset0:11 offset1:12
.LBB0_7:
	s_wait_alu 0xfffe
	s_or_b32 exec_lo, exec_lo, s0
	v_and_b32_e32 v0, 0xff, v42
	v_and_b32_e32 v1, 0xff, v73
	v_add_co_u32 v28, s0, 0x4e, v42
	s_wait_alu 0xf1ff
	v_add_co_ci_u32_e64 v29, null, 0, 0, s0
	v_mul_lo_u16 v0, 0x4f, v0
	v_mul_lo_u16 v1, 0x4f, v1
	v_add_co_u32 v30, s0, 0x75, v42
	s_wait_alu 0xf1ff
	v_add_co_ci_u32_e64 v31, null, 0, 0, s0
	v_lshrrev_b16 v27, 10, v0
	v_lshrrev_b16 v26, 10, v1
	v_and_b32_e32 v1, 0xff, v28
	v_add_co_u32 v36, s0, 0x9c, v42
	s_delay_alu instid0(VALU_DEP_4) | instskip(NEXT) | instid1(VALU_DEP_4)
	v_mul_lo_u16 v0, v27, 13
	v_mul_lo_u16 v2, v26, 13
	s_delay_alu instid0(VALU_DEP_4)
	v_mul_lo_u16 v1, 0x4f, v1
	v_and_b32_e32 v46, 0xff, v30
	v_and_b32_e32 v47, 0xff, v36
	v_sub_nc_u16 v0, v42, v0
	v_sub_nc_u16 v2, v73, v2
	v_lshrrev_b16 v38, 10, v1
	v_mul_lo_u16 v1, 0x4f, v46
	v_mul_lo_u16 v3, 0x4f, v47
	v_and_b32_e32 v35, 0xff, v0
	v_and_b32_e32 v49, 0xff, v2
	global_wb scope:SCOPE_SE
	s_wait_storecnt_dscnt 0x0
	v_lshrrev_b16 v52, 10, v1
	s_barrier_signal -1
	v_lshlrev_b32_e32 v0, 4, v35
	v_lshlrev_b32_e32 v2, 4, v49
	s_barrier_wait -1
	global_inv scope:SCOPE_SE
	v_lshrrev_b16 v48, 10, v3
	s_clause 0x1
	global_load_b128 v[16:19], v0, s[2:3]
	global_load_b128 v[12:15], v2, s[2:3]
	v_mul_lo_u16 v0, v38, 13
	v_mul_lo_u16 v1, v52, 13
	;; [unrolled: 1-line block ×3, first 2 shown]
	v_add_nc_u32_e32 v34, 0x400, v89
	v_add_nc_u32_e32 v32, 0x800, v89
	v_sub_nc_u16 v0, v28, v0
	v_sub_nc_u16 v1, v30, v1
	v_add_nc_u32_e32 v33, 0xc00, v89
	v_add_nc_u32_e32 v78, 0x200, v89
	v_and_b32_e32 v27, 0xffff, v27
	v_and_b32_e32 v54, 0xff, v0
	v_sub_nc_u16 v0, v36, v2
	v_and_b32_e32 v51, 0xff, v1
	v_and_b32_e32 v26, 0xffff, v26
	v_mul_u32_u24_e32 v27, 0x41, v27
	v_lshlrev_b32_e32 v1, 4, v54
	v_and_b32_e32 v39, 0xff, v0
	v_lshlrev_b32_e32 v0, 4, v51
	v_mul_u32_u24_e32 v26, 0x41, v26
	s_wait_alu 0xf1ff
	v_add_co_ci_u32_e64 v37, null, 0, 0, s0
	global_load_b128 v[8:11], v1, s[2:3]
	v_lshlrev_b32_e32 v1, 4, v39
	s_clause 0x1
	global_load_b128 v[4:7], v0, s[2:3]
	global_load_b128 v[0:3], v1, s[2:3]
	ds_load_2addr_b32 v[24:25], v89 offset1:39
	ds_load_2addr_b32 v[20:21], v89 offset0:156 offset1:195
	ds_load_2addr_b32 v[22:23], v89 offset0:78 offset1:117
	ds_load_b32 v83, v89 offset:3744
	ds_load_2addr_b32 v[58:59], v34 offset0:134 offset1:173
	ds_load_2addr_b32 v[61:62], v32 offset0:34 offset1:73
	;; [unrolled: 1-line block ×9, first 2 shown]
	v_add_nc_u32_e32 v26, v26, v49
	global_wb scope:SCOPE_SE
	s_wait_loadcnt_dscnt 0x0
	s_barrier_signal -1
	s_barrier_wait -1
	global_inv scope:SCOPE_SE
	v_cmp_gt_u16_e64 s0, 13, v42
	v_lshrrev_b32_e32 v84, 16, v83
	v_lshrrev_b32_e32 v85, 16, v58
	;; [unrolled: 1-line block ×33, first 2 shown]
	v_mul_f16_e64 v153, v60, v139
	v_mul_f16_e64 v154, v21, v139
	;; [unrolled: 1-line block ×16, first 2 shown]
	v_lshrrev_b32_e32 v133, 16, v8
	v_lshrrev_b32_e32 v131, 16, v9
	;; [unrolled: 1-line block ×12, first 2 shown]
	v_fma_f16 v153, v21, v16, -v153
	v_fmac_f16_e64 v154, v60, v16
	v_fma_f16 v155, v58, v17, -v155
	v_fmac_f16_e64 v156, v85, v17
	;; [unrolled: 2-line block ×8, first 2 shown]
	v_mul_f16_e64 v62, v142, v133
	v_mul_f16_e64 v137, v66, v133
	;; [unrolled: 1-line block ×16, first 2 shown]
	v_mul_f16_e32 v58, v61, v95
	v_mul_f16_e64 v175, v152, v93
	v_mul_f16_e32 v59, v82, v93
	v_mul_f16_e64 v176, v84, v92
	v_mul_f16_e64 v169, v148, v124
	;; [unrolled: 1-line block ×3, first 2 shown]
	v_mul_f16_e32 v21, v80, v122
	v_mul_f16_e32 v60, v83, v92
	v_fma_f16 v66, v66, v8, -v62
	v_fmac_f16_e64 v137, v142, v8
	v_fma_f16 v69, v69, v9, -v63
	v_fmac_f16_e64 v140, v143, v9
	;; [unrolled: 2-line block ×6, first 2 shown]
	v_fmac_f16_e64 v170, v148, v6
	v_fmac_f16_e64 v172, v149, v7
	v_fma_f16 v63, v80, v0, -v173
	v_fma_f16 v61, v61, v1, -v174
	v_fmac_f16_e64 v58, v151, v1
	v_fma_f16 v62, v82, v2, -v175
	v_fmac_f16_e64 v59, v152, v2
	v_fma_f16 v64, v83, v3, -v176
	v_add_f16_e64 v80, v24, v153
	v_add_f16_e64 v82, v155, v85
	v_sub_f16_e64 v83, v154, v160
	v_sub_f16_e64 v142, v153, v155
	;; [unrolled: 1-line block ×3, first 2 shown]
	v_add_f16_e64 v144, v153, v86
	v_sub_f16_e64 v145, v155, v153
	v_sub_f16_e64 v146, v85, v86
	v_add_f16_e64 v147, v57, v154
	v_add_f16_e64 v148, v156, v158
	v_sub_f16_e64 v149, v153, v86
	v_sub_f16_e64 v151, v154, v156
	;; [unrolled: 1-line block ×3, first 2 shown]
	v_add_f16_e64 v153, v154, v160
	v_sub_f16_e64 v154, v156, v154
	v_sub_f16_e64 v157, v158, v160
	v_add_f16_e64 v161, v25, v65
	v_add_f16_e64 v165, v87, v67
	v_sub_f16_e64 v173, v65, v87
	v_sub_f16_e64 v174, v88, v67
	v_add_f16_e64 v175, v65, v88
	v_sub_f16_e64 v176, v87, v65
	v_sub_f16_e64 v177, v67, v88
	v_add_f16_e64 v178, v56, v162
	v_add_f16_e64 v179, v164, v166
	;; [unrolled: 1-line block ×3, first 2 shown]
	v_fma_f16 v81, v81, v6, -v169
	v_fma_f16 v72, v72, v7, -v171
	v_fmac_f16_e64 v21, v150, v0
	v_fmac_f16_e32 v60, v84, v3
	v_sub_f16_e64 v84, v156, v158
	v_sub_f16_e64 v150, v155, v85
	;; [unrolled: 1-line block ×8, first 2 shown]
	v_add_f16_e64 v80, v80, v155
	v_fma_f16 v82, -0.5, v82, v24
	v_add_f16_e64 v142, v142, v143
	v_fma_f16 v24, -0.5, v144, v24
	v_add_f16_e64 v143, v145, v146
	v_add_f16_e64 v144, v147, v156
	v_fma_f16 v145, -0.5, v148, v57
	v_add_f16_e64 v146, v151, v152
	v_fmac_f16_e64 v57, -0.5, v153
	v_add_f16_e64 v147, v154, v157
	v_add_f16_e64 v87, v161, v87
	v_fma_f16 v148, -0.5, v165, v25
	v_add_f16_e64 v151, v173, v174
	v_fmac_f16_e64 v25, -0.5, v175
	v_add_f16_e64 v152, v176, v177
	v_add_f16_e64 v153, v178, v164
	v_fma_f16 v154, -0.5, v179, v56
	v_fmac_f16_e64 v56, -0.5, v183
	v_add_f16_e64 v157, v22, v66
	v_add_f16_e64 v161, v69, v68
	v_sub_f16_e64 v165, v66, v69
	v_sub_f16_e64 v173, v71, v68
	v_add_f16_e64 v174, v66, v71
	v_sub_f16_e64 v175, v69, v66
	v_sub_f16_e64 v176, v68, v71
	v_add_f16_e64 v177, v55, v137
	v_add_f16_e64 v178, v140, v141
	;; [unrolled: 1-line block ×4, first 2 shown]
	v_sub_f16_e64 v171, v164, v166
	v_sub_f16_e32 v65, v65, v88
	v_add_f16_e64 v155, v181, v182
	v_add_f16_e64 v156, v162, v184
	v_sub_f16_e64 v162, v137, v159
	v_sub_f16_e64 v164, v140, v141
	;; [unrolled: 1-line block ×7, first 2 shown]
	v_add_f16_e64 v191, v79, v72
	v_sub_f16_e64 v192, v70, v79
	v_add_f16_e64 v195, v167, v170
	v_sub_f16_e64 v196, v79, v72
	v_add_f16_e32 v79, v80, v85
	v_fma_f16 v197, 0xbb9c, v84, v24
	v_fmac_f16_e32 v24, 0x3b9c, v84
	v_add_f16_e64 v80, v144, v158
	v_fma_f16 v158, 0x3b9c, v150, v57
	v_fmac_f16_e64 v57, 0xbb9c, v150
	v_add_f16_e64 v69, v157, v69
	v_add_f16_e64 v165, v165, v173
	v_fma_f16 v173, 0x3b9c, v180, v56
	v_fmac_f16_e64 v56, 0xbb9c, v180
	v_fma_f16 v161, -0.5, v161, v22
	v_fma_f16 v22, -0.5, v174, v22
	v_add_f16_e64 v174, v175, v176
	v_add_f16_e64 v140, v177, v140
	v_fma_f16 v175, -0.5, v178, v55
	v_fmac_f16_e64 v55, -0.5, v183
	v_add_f16_e64 v177, v185, v70
	v_sub_f16_e32 v66, v66, v71
	v_fmamk_f16 v85, v83, 0x3b9c, v82
	v_fmac_f16_e32 v82, 0xbb9c, v83
	v_fma_f16 v144, 0xbb9c, v149, v145
	v_fmac_f16_e64 v145, 0x3b9c, v149
	v_add_f16_e32 v67, v87, v67
	v_fma_f16 v157, 0xbb9c, v65, v154
	v_fmac_f16_e64 v154, 0x3b9c, v65
	v_add_f16_e64 v137, v137, v184
	v_fma_f16 v184, -0.5, v195, v53
	v_add_f16_e32 v86, v79, v86
	v_fmac_f16_e64 v197, 0x38b4, v83
	v_fmac_f16_e32 v24, 0xb8b4, v83
	v_add_f16_e64 v83, v80, v160
	v_fmac_f16_e64 v158, 0xb8b4, v149
	v_fmac_f16_e64 v57, 0x38b4, v149
	v_fmac_f16_e64 v173, 0xb8b4, v65
	v_fmac_f16_e32 v56, 0x38b4, v65
	v_add_f16_e32 v65, v69, v68
	v_add_f16_e64 v79, v140, v141
	v_fma_f16 v149, 0x3b9c, v179, v55
	v_fmac_f16_e64 v55, 0xbb9c, v179
	v_add_f16_e64 v80, v177, v81
	v_add_f16_e64 v186, v70, v81
	v_sub_f16_e64 v190, v72, v81
	v_sub_f16_e64 v193, v81, v72
	v_add_f16_e32 v67, v67, v88
	v_fma_f16 v88, 0xbb9c, v66, v175
	v_fmac_f16_e64 v175, 0x3b9c, v66
	v_fmac_f16_e64 v197, 0x34f2, v143
	;; [unrolled: 1-line block ×3, first 2 shown]
	v_add_f16_e32 v65, v65, v71
	v_add_f16_e64 v71, v79, v159
	v_fmac_f16_e64 v149, 0xb8b4, v66
	v_fmac_f16_e32 v55, 0x38b4, v66
	v_add_f16_e32 v66, v80, v72
	v_fma_f16 v143, 0xbb9c, v196, v184
	v_add_f16_e64 v79, v163, v172
	v_sub_f16_e32 v70, v70, v81
	v_sub_f16_e64 v80, v163, v167
	v_sub_f16_e64 v81, v172, v170
	v_fmac_f16_e64 v184, 0x3b9c, v196
	v_add_f16_e64 v194, v53, v163
	v_fmac_f16_e64 v158, 0x34f2, v147
	v_fmac_f16_e64 v57, 0x34f2, v147
	;; [unrolled: 1-line block ×4, first 2 shown]
	v_fmac_f16_e32 v53, -0.5, v79
	v_fmac_f16_e64 v143, 0xb8b4, v70
	v_add_f16_e32 v80, v80, v81
	v_sub_f16_e64 v79, v167, v163
	v_sub_f16_e64 v137, v170, v172
	v_add_f16_e64 v140, v61, v62
	v_fmac_f16_e64 v184, 0x38b4, v70
	v_add_f16_e64 v147, v63, v64
	v_sub_f16_e64 v182, v159, v141
	v_add_f16_e64 v153, v153, v166
	v_fma_f16 v166, 0xbb9c, v171, v25
	v_fmac_f16_e64 v25, 0x3b9c, v171
	v_fmac_f16_e64 v143, 0x34f2, v80
	v_add_f16_e64 v137, v79, v137
	v_add_f16_e64 v141, v20, v63
	v_fma_f16 v79, -0.5, v140, v20
	v_fmac_f16_e64 v184, 0x34f2, v80
	v_sub_f16_e32 v80, v58, v59
	v_fmac_f16_e64 v20, -0.5, v147
	v_fma_f16 v87, 0x3b9c, v169, v148
	v_fmac_f16_e64 v148, 0xbb9c, v169
	v_fmac_f16_e32 v85, 0x38b4, v84
	v_fmac_f16_e32 v82, 0xb8b4, v84
	v_fmac_f16_e64 v144, 0xb8b4, v150
	v_fmac_f16_e64 v145, 0x38b4, v150
	;; [unrolled: 1-line block ×4, first 2 shown]
	v_fmamk_f16 v81, v70, 0x3b9c, v53
	v_sub_f16_e64 v140, v21, v60
	v_fmac_f16_e32 v53, 0xbb9c, v70
	v_fma_f16 v147, 0xbb9c, v80, v20
	v_fmac_f16_e32 v20, 0x3b9c, v80
	v_fmac_f16_e64 v87, 0x38b4, v171
	v_fmac_f16_e64 v148, 0xb8b4, v171
	v_fmac_f16_e64 v85, 0x34f2, v142
	v_fmac_f16_e64 v82, 0x34f2, v142
	v_fmac_f16_e64 v144, 0x34f2, v146
	v_fmac_f16_e64 v145, 0x34f2, v146
	v_fmac_f16_e64 v166, 0x34f2, v152
	v_fmac_f16_e64 v25, 0x34f2, v152
	v_fmac_f16_e64 v81, 0xb8b4, v196
	v_add_f16_e64 v70, v141, v61
	v_fma_f16 v146, 0x3b9c, v140, v79
	v_sub_f16_e64 v141, v63, v61
	v_sub_f16_e64 v142, v64, v62
	v_fmac_f16_e64 v53, 0x38b4, v196
	v_fmac_f16_e64 v79, 0xbb9c, v140
	v_add_f16_e64 v152, v58, v59
	v_fmac_f16_e64 v147, 0x38b4, v140
	v_fmac_f16_e64 v20, 0xb8b4, v140
	v_add_f16_e64 v140, v21, v60
	v_fmac_f16_e64 v87, 0x34f2, v151
	v_fmac_f16_e64 v148, 0x34f2, v151
	;; [unrolled: 1-line block ×4, first 2 shown]
	v_add_f16_e64 v141, v141, v142
	v_fmac_f16_e64 v53, 0x34f2, v137
	v_sub_f16_e64 v137, v61, v63
	v_sub_f16_e64 v142, v62, v64
	v_fmac_f16_e32 v79, 0xb8b4, v80
	v_add_f16_e64 v151, v50, v21
	v_fma_f16 v80, -0.5, v152, v50
	v_sub_f16_e32 v61, v61, v62
	v_fmac_f16_e64 v50, -0.5, v140
	v_add_f16_e32 v70, v70, v62
	v_add_f16_e64 v137, v137, v142
	v_add_f16_e64 v142, v151, v58
	v_sub_f16_e32 v63, v63, v64
	v_sub_f16_e32 v62, v21, v58
	v_fma_f16 v152, 0x3b9c, v61, v50
	v_sub_f16_e32 v21, v58, v21
	v_sub_f16_e32 v58, v59, v60
	v_fmac_f16_e32 v50, 0xbb9c, v61
	v_fmac_f16_e64 v157, 0xb8b4, v180
	v_fmac_f16_e64 v152, 0xb8b4, v63
	;; [unrolled: 1-line block ×3, first 2 shown]
	v_add_f16_e32 v21, v21, v58
	v_fmac_f16_e32 v50, 0x38b4, v63
	v_fmac_f16_e64 v20, 0x34f2, v137
	v_pack_b32_f16 v24, v24, v57
	v_sub_f16_e64 v187, v163, v172
	v_fmac_f16_e64 v152, 0x34f2, v21
	v_fmac_f16_e32 v50, 0x34f2, v21
	v_add_nc_u32_e32 v21, v27, v35
	v_pack_b32_f16 v27, v85, v144
	v_pack_b32_f16 v35, v197, v158
	v_fma_f16 v178, -0.5, v186, v23
	v_add_f16_e64 v84, v153, v168
	v_lshl_add_u32 v137, v21, 2, v116
	v_pack_b32_f16 v21, v86, v83
	v_fmac_f16_e64 v157, 0x34f2, v155
	v_fma_f16 v68, 0x3b9c, v162, v161
	v_fmac_f16_e64 v173, 0x34f2, v156
	v_fmac_f16_e64 v56, 0x34f2, v156
	ds_store_2addr_b32 v137, v21, v27 offset1:13
	ds_store_2addr_b32 v137, v35, v24 offset0:26 offset1:39
	v_and_b32_e32 v21, 0xffff, v38
	v_fma_f16 v69, 0xbb9c, v164, v22
	v_fmac_f16_e64 v22, 0x3b9c, v164
	v_fmac_f16_e64 v161, 0xbb9c, v162
	v_sub_f16_e64 v188, v167, v170
	v_fmac_f16_e64 v23, -0.5, v191
	v_add_f16_e64 v183, v194, v167
	v_fmac_f16_e64 v154, 0x38b4, v180
	v_fma_f16 v150, 0x3b9c, v187, v178
	v_pack_b32_f16 v57, v82, v145
	v_lshl_add_u32 v140, v26, 2, v116
	v_pack_b32_f16 v24, v67, v84
	v_pack_b32_f16 v26, v87, v157
	v_and_b32_e32 v35, 0xffff, v52
	v_add_f16_e64 v176, v181, v182
	v_fmac_f16_e64 v68, 0x38b4, v164
	v_fmac_f16_e64 v88, 0xb8b4, v179
	v_mul_u32_u24_e32 v21, 0x41, v21
	v_pack_b32_f16 v27, v166, v173
	v_pack_b32_f16 v25, v25, v56
	v_fmac_f16_e64 v69, 0x38b4, v162
	v_fmac_f16_e64 v22, 0xb8b4, v162
	;; [unrolled: 1-line block ×4, first 2 shown]
	v_fma_f16 v153, 0xbb9c, v188, v23
	v_fmac_f16_e64 v23, 0x3b9c, v188
	v_add_f16_e64 v181, v189, v190
	v_fmac_f16_e64 v178, 0xbb9c, v187
	v_fmac_f16_e64 v154, 0x34f2, v155
	;; [unrolled: 1-line block ×3, first 2 shown]
	v_add_f16_e64 v72, v183, v170
	ds_store_b32 v137, v57 offset:208
	ds_store_2addr_b32 v140, v24, v26 offset1:13
	ds_store_2addr_b32 v140, v27, v25 offset0:26 offset1:39
	v_mul_u32_u24_e32 v24, 0x41, v35
	v_fmac_f16_e64 v68, 0x34f2, v165
	v_fmac_f16_e64 v88, 0x34f2, v176
	;; [unrolled: 1-line block ×4, first 2 shown]
	v_fma_f16 v151, 0xbb9c, v63, v80
	v_sub_f16_e64 v141, v60, v59
	v_add_nc_u32_e32 v21, v21, v54
	v_and_b32_e32 v27, 0xffff, v48
	v_fmac_f16_e64 v69, 0x34f2, v174
	v_fmac_f16_e64 v22, 0x34f2, v174
	;; [unrolled: 1-line block ×4, first 2 shown]
	v_fmac_f16_e32 v80, 0x3b9c, v63
	v_add_f16_e64 v182, v192, v193
	v_fmac_f16_e64 v153, 0x38b4, v187
	v_fmac_f16_e64 v23, 0xb8b4, v187
	;; [unrolled: 1-line block ×4, first 2 shown]
	v_add_f16_e64 v72, v72, v172
	v_pack_b32_f16 v38, v148, v154
	v_add_nc_u32_e32 v24, v24, v51
	v_add_f16_e32 v70, v70, v64
	v_add_f16_e64 v64, v142, v59
	v_fmac_f16_e64 v151, 0xb8b4, v61
	v_add_f16_e64 v62, v62, v141
	v_lshl_add_u32 v141, v21, 2, v116
	v_pack_b32_f16 v21, v65, v71
	v_pack_b32_f16 v25, v68, v88
	v_mul_u32_u24_e32 v27, 0x41, v27
	v_pack_b32_f16 v26, v69, v149
	v_pack_b32_f16 v22, v22, v55
	v_fmac_f16_e32 v80, 0x38b4, v61
	v_pack_b32_f16 v35, v161, v175
	v_fmac_f16_e64 v153, 0x34f2, v182
	v_fmac_f16_e64 v23, 0x34f2, v182
	v_fmac_f16_e64 v178, 0x34f2, v181
	ds_store_b32 v140, v38 offset:208
	v_lshl_add_u32 v142, v24, 2, v116
	v_pack_b32_f16 v24, v66, v72
	v_pack_b32_f16 v38, v150, v143
	v_add_f16_e32 v64, v64, v60
	v_fmac_f16_e64 v151, 0x34f2, v62
	ds_store_2addr_b32 v141, v21, v25 offset1:13
	ds_store_2addr_b32 v141, v26, v22 offset0:26 offset1:39
	ds_store_b32 v141, v35 offset:208
	v_add_nc_u32_e32 v21, v27, v39
	v_fmac_f16_e32 v80, 0x34f2, v62
	v_pack_b32_f16 v22, v153, v81
	v_pack_b32_f16 v23, v23, v53
	ds_store_2addr_b32 v142, v24, v38 offset1:13
	v_pack_b32_f16 v24, v178, v184
	v_lshl_add_u32 v143, v21, 2, v116
	v_pack_b32_f16 v21, v70, v64
	v_pack_b32_f16 v25, v146, v151
	;; [unrolled: 1-line block ×5, first 2 shown]
	ds_store_2addr_b32 v142, v22, v23 offset0:26 offset1:39
	ds_store_b32 v142, v24 offset:208
	ds_store_2addr_b32 v143, v21, v25 offset1:13
	ds_store_2addr_b32 v143, v26, v20 offset0:26 offset1:39
	ds_store_b32 v143, v27 offset:208
	v_add_nc_u32_e32 v20, 0x600, v89
	global_wb scope:SCOPE_SE
	s_wait_dscnt 0x0
	s_barrier_signal -1
	s_barrier_wait -1
	global_inv scope:SCOPE_SE
	ds_load_2addr_b32 v[26:27], v89 offset1:39
	ds_load_2addr_b32 v[71:72], v34 offset0:69 offset1:108
	ds_load_2addr_b32 v[69:70], v32 offset0:138 offset1:177
	;; [unrolled: 1-line block ×11, first 2 shown]
                                        ; implicit-def: $vgpr81
                                        ; implicit-def: $vgpr82
	s_and_saveexec_b32 s1, s0
	s_cbranch_execz .LBB0_9
; %bb.8:
	ds_load_b32 v79, v89 offset:1248
	ds_load_b32 v75, v89 offset:2548
	;; [unrolled: 1-line block ×3, first 2 shown]
	s_wait_dscnt 0x2
	v_lshrrev_b32_e32 v80, 16, v79
	s_wait_dscnt 0x1
	v_lshrrev_b32_e32 v76, 16, v75
	;; [unrolled: 2-line block ×3, first 2 shown]
.LBB0_9:
	s_wait_alu 0xfffe
	s_or_b32 exec_lo, exec_lo, s1
	v_add_co_u32 v50, s1, 0xffffffe6, v42
	s_wait_alu 0xf1ff
	v_add_co_ci_u32_e64 v51, null, 0, -1, s1
	v_cmp_gt_u16_e64 s1, 26, v42
	v_lshlrev_b64_e32 v[48:49], 3, v[42:43]
	v_mul_lo_u16 v43, 0xfd, v46
	v_add_nc_u32_e32 v57, 0x111, v42
	v_add_nc_u32_e32 v58, 0x138, v42
	s_wait_alu 0xf1ff
	v_cndmask_b32_e64 v84, v51, v45, s1
	v_cndmask_b32_e64 v83, v50, v73, s1
	v_add_co_u32 v45, s1, s2, v48
	s_wait_alu 0xf1ff
	v_add_co_ci_u32_e64 v46, s1, s3, v49, s1
	v_mul_lo_u16 v49, 0xfd, v47
	v_lshlrev_b64_e32 v[47:48], 3, v[83:84]
	v_lshrrev_b16 v43, 14, v43
	global_load_b64 v[55:56], v[45:46], off offset:208
	v_and_b32_e32 v61, 0xffff, v57
	v_lshrrev_b16 v49, 14, v49
	v_and_b32_e32 v62, 0xffff, v58
	v_mul_lo_u16 v50, 0x41, v43
	v_add_co_u32 v47, s1, s2, v47
	s_wait_alu 0xf1ff
	v_add_co_ci_u32_e64 v48, s1, s3, v48, s1
	v_mul_lo_u16 v49, 0x41, v49
	v_sub_nc_u16 v50, v30, v50
	v_mul_u32_u24_e32 v61, 0xfc1, v61
	global_load_b64 v[53:54], v[47:48], off offset:208
	v_mul_u32_u24_e32 v62, 0xfc1, v62
	v_sub_nc_u16 v47, v36, v49
	v_and_b32_e32 v86, 0xff, v50
	s_wait_dscnt 0x9
	v_lshrrev_b32_e32 v150, 16, v69
	v_lshrrev_b32_e32 v151, 16, v72
	;; [unrolled: 1-line block ×3, first 2 shown]
	v_and_b32_e32 v87, 0xff, v47
	v_lshlrev_b32_e32 v47, 3, v86
	v_and_b32_e32 v43, 0xffff, v43
	v_lshrrev_b32_e32 v152, 16, v27
	s_wait_dscnt 0x7
	v_lshrrev_b32_e32 v157, 16, v67
	v_lshlrev_b32_e32 v48, 3, v87
	s_clause 0x2
	global_load_b64 v[49:50], v47, s[2:3] offset:208
	global_load_b64 v[51:52], v[45:46], off offset:312
	global_load_b64 v[47:48], v48, s[2:3] offset:208
	v_add_nc_u16 v45, v42, 0xc3
	v_add_co_u32 v46, null, 0xea, v42
	v_mul_u32_u24_e32 v43, 0xc3, v43
	s_wait_dscnt 0x6
	v_lshrrev_b32_e32 v159, 16, v65
	v_and_b32_e32 v59, 0xff, v45
	v_and_b32_e32 v60, 0xffff, v46
	v_lshrrev_b32_e32 v164, 16, v68
	v_lshrrev_b32_e32 v166, 16, v66
	s_wait_dscnt 0x4
	v_lshrrev_b32_e32 v169, 16, v63
	v_mul_lo_u16 v59, 0xfd, v59
	v_mul_u32_u24_e32 v60, 0xfc1, v60
	s_wait_dscnt 0x3
	v_lshrrev_b32_e32 v170, 16, v38
	v_add_nc_u32_e32 v43, v43, v86
	v_lshrrev_b32_e32 v174, 16, v64
	v_lshrrev_b16 v59, 14, v59
	v_lshrrev_b32_e32 v88, 18, v60
	v_lshrrev_b32_e32 v60, 18, v61
	;; [unrolled: 1-line block ×4, first 2 shown]
	v_mul_lo_u16 v59, 0x41, v59
	v_mul_lo_u16 v62, 0x41, v88
	;; [unrolled: 1-line block ×4, first 2 shown]
	v_lshl_add_u32 v149, v43, 2, v116
	v_sub_nc_u16 v45, v45, v59
	v_sub_nc_u16 v144, v46, v62
	;; [unrolled: 1-line block ×4, first 2 shown]
	v_lshrrev_b32_e32 v172, 16, v22
	v_and_b32_e32 v146, 0xff, v45
	v_lshlrev_b16 v45, 3, v144
	v_lshlrev_b16 v46, 3, v145
	;; [unrolled: 1-line block ×3, first 2 shown]
	v_and_b32_e32 v43, 0xffff, v148
	v_lshlrev_b32_e32 v58, 3, v146
	v_and_b32_e32 v45, 0xffff, v45
	v_and_b32_e32 v59, 0xffff, v46
	;; [unrolled: 1-line block ×3, first 2 shown]
	v_lshrrev_b32_e32 v168, 16, v24
	global_load_b64 v[61:62], v58, s[2:3] offset:208
	v_add_co_u32 v45, s1, s2, v45
	s_wait_alu 0xf1ff
	v_add_co_ci_u32_e64 v46, null, s3, 0, s1
	v_add_co_u32 v57, s1, s2, v59
	s_wait_alu 0xf1ff
	v_add_co_ci_u32_e64 v58, null, s3, 0, s1
	;; [unrolled: 3-line block ×3, first 2 shown]
	s_clause 0x2
	global_load_b64 v[59:60], v[45:46], off offset:208
	global_load_b64 v[57:58], v[57:58], off offset:208
	;; [unrolled: 1-line block ×3, first 2 shown]
	v_cmp_lt_u16_e64 s1, 25, v42
	v_lshrrev_b32_e32 v85, 16, v71
	v_lshrrev_b32_e32 v84, 16, v26
	;; [unrolled: 1-line block ×3, first 2 shown]
	s_wait_dscnt 0x1
	v_lshrrev_b32_e32 v177, 16, v34
	s_wait_alu 0xf1ff
	v_cndmask_b32_e64 v147, 0, 0xc3, s1
	s_wait_dscnt 0x0
	v_lshrrev_b32_e32 v178, 16, v32
	scratch_store_b32 off, v43, off         ; 4-byte Folded Spill
	v_lshrrev_b32_e32 v180, 16, v35
	v_lshrrev_b32_e32 v181, 16, v33
	v_add_nc_u32_e32 v83, v83, v147
	v_lshrrev_b32_e32 v173, 16, v23
	global_wb scope:SCOPE_SE
	s_wait_loadcnt 0x0
	s_wait_storecnt 0x0
	s_barrier_signal -1
	s_barrier_wait -1
	v_lshl_add_u32 v147, v83, 2, v116
	v_mad_u16 v83, 0xc3, v88, v144
	global_inv scope:SCOPE_SE
	v_lshrrev_b32_e32 v176, 16, v20
	v_lshrrev_b32_e32 v179, 16, v21
	v_and_b32_e32 v86, 0xffff, v145
	v_lshl_add_u32 v145, v87, 2, v116
	v_lshl_add_u32 v146, v146, 2, v116
	v_and_b32_e32 v83, 0xffff, v83
	s_delay_alu instid0(VALU_DEP_4) | instskip(NEXT) | instid1(VALU_DEP_4)
	v_lshl_add_u32 v144, v86, 2, v116
	v_add_nc_u32_e32 v86, 0x400, v145
	s_delay_alu instid0(VALU_DEP_4) | instskip(NEXT) | instid1(VALU_DEP_4)
	v_add_nc_u32_e32 v87, 0x800, v146
	v_lshl_add_u32 v148, v83, 2, v116
	s_delay_alu instid0(VALU_DEP_4) | instskip(SKIP_2) | instid1(VALU_DEP_2)
	v_add_nc_u32_e32 v83, 0xc00, v144
	v_lshrrev_b32_e32 v167, 16, v55
	v_lshrrev_b32_e32 v162, 16, v56
	v_mul_f16_e64 v88, v85, v167
	v_mul_f16_e64 v154, v71, v167
	s_delay_alu instid0(VALU_DEP_3) | instskip(SKIP_1) | instid1(VALU_DEP_4)
	v_mul_f16_e64 v155, v150, v162
	v_mul_f16_e64 v182, v69, v162
	v_fma_f16 v71, v71, v55, -v88
	s_delay_alu instid0(VALU_DEP_4)
	v_fmac_f16_e64 v154, v85, v55
	v_lshrrev_b32_e32 v163, 16, v53
	v_lshrrev_b32_e32 v160, 16, v54
	v_fma_f16 v69, v69, v56, -v155
	v_fmac_f16_e64 v182, v150, v56
	v_add_f16_e64 v187, v84, v154
	v_mul_f16_e64 v85, v151, v163
	v_mul_f16_e64 v88, v72, v163
	;; [unrolled: 1-line block ×4, first 2 shown]
	v_add_f16_e64 v185, v71, v69
	v_sub_f16_e64 v186, v154, v182
	v_add_f16_e64 v188, v154, v182
	v_add_f16_e64 v184, v26, v71
	v_lshrrev_b32_e32 v156, 16, v50
	v_sub_f16_e32 v71, v71, v69
	v_lshrrev_b32_e32 v154, 16, v48
	v_lshrrev_b32_e32 v155, 16, v47
	;; [unrolled: 1-line block ×5, first 2 shown]
	v_fma_f16 v72, v72, v53, -v85
	v_fmac_f16_e64 v88, v151, v53
	v_fma_f16 v70, v70, v54, -v150
	v_fmac_f16_e64 v183, v153, v54
	v_fma_f16 v26, -0.5, v185, v26
	v_fmac_f16_e64 v84, -0.5, v188
	v_mul_f16_e64 v188, v66, v156
	v_mul_f16_e64 v192, v38, v154
	;; [unrolled: 1-line block ×3, first 2 shown]
	v_add_f16_e64 v69, v184, v69
	v_add_f16_e64 v85, v187, v182
	v_mul_f16_e64 v150, v157, v165
	v_mul_f16_e64 v153, v67, v165
	;; [unrolled: 1-line block ×9, first 2 shown]
	v_fma_f16 v193, 0x3aee, v186, v26
	v_fmac_f16_e64 v26, 0xbaee, v186
	v_fma_f16 v186, 0xbaee, v71, v84
	v_fmac_f16_e32 v84, 0x3aee, v71
	v_add_f16_e32 v71, v27, v72
	v_add_f16_e64 v194, v72, v70
	v_sub_f16_e64 v195, v88, v183
	v_add_f16_e64 v196, v152, v88
	v_add_f16_e64 v88, v88, v183
	v_fmac_f16_e64 v188, v166, v50
	v_fmac_f16_e64 v192, v170, v48
	v_fmac_f16_e64 v190, v169, v47
	v_sub_f16_e32 v72, v72, v70
	v_pack_b32_f16 v69, v69, v85
	v_fma_f16 v67, v67, v51, -v150
	v_fmac_f16_e64 v153, v157, v51
	v_lshrrev_b32_e32 v170, 16, v61
	v_lshrrev_b32_e32 v166, 16, v62
	v_fma_f16 v65, v65, v52, -v151
	v_fmac_f16_e64 v182, v159, v52
	v_fma_f16 v68, v68, v49, -v184
	v_fmac_f16_e64 v185, v164, v49
	v_fma_f16 v63, v63, v47, -v189
	v_fma_f16 v85, v38, v48, -v191
	v_add_f16_e32 v38, v71, v70
	v_fmac_f16_e64 v27, -0.5, v194
	v_add_f16_e64 v70, v196, v183
	v_fmac_f16_e64 v152, -0.5, v88
	v_pack_b32_f16 v71, v193, v186
	v_pack_b32_f16 v26, v26, v84
	v_mul_f16_e64 v84, v174, v170
	v_mul_f16_e64 v88, v64, v170
	;; [unrolled: 1-line block ×4, first 2 shown]
	v_lshrrev_b32_e32 v169, 16, v59
	v_lshrrev_b32_e32 v164, 16, v60
	;; [unrolled: 1-line block ×5, first 2 shown]
	v_fma_f16 v66, v66, v50, -v187
	v_lshrrev_b32_e32 v92, 16, v45
	v_sub_f16_e64 v200, v190, v192
	v_add_f16_e64 v201, v172, v190
	v_add_f16_e64 v190, v190, v192
	;; [unrolled: 1-line block ×4, first 2 shown]
	v_sub_f16_e64 v189, v153, v182
	v_add_f16_e64 v191, v168, v153
	v_add_f16_e64 v153, v153, v182
	v_sub_f16_e64 v196, v185, v188
	v_add_f16_e64 v197, v171, v185
	v_add_f16_e64 v185, v185, v188
	;; [unrolled: 1-line block ×3, first 2 shown]
	v_fma_f16 v202, 0x3aee, v195, v27
	v_fmac_f16_e64 v27, 0xbaee, v195
	v_fma_f16 v195, 0xbaee, v72, v152
	v_fmac_f16_e64 v152, 0x3aee, v72
	ds_store_2addr_b32 v89, v69, v71 offset1:65
	ds_store_b32 v89, v26 offset:520
	v_pack_b32_f16 v69, v38, v70
	v_fma_f16 v64, v64, v61, -v84
	v_fmac_f16_e64 v88, v174, v61
	v_fma_f16 v39, v39, v62, -v183
	v_fmac_f16_e64 v184, v175, v62
	v_mul_f16_e64 v70, v177, v169
	v_mul_f16_e64 v71, v34, v169
	;; [unrolled: 1-line block ×7, first 2 shown]
	v_mul_f16_e32 v26, v81, v43
	v_add_f16_e64 v193, v25, v68
	v_add_f16_e64 v194, v68, v66
	v_mul_f16_e64 v174, v180, v159
	v_mul_f16_e64 v183, v181, v157
	v_add_f16_e64 v198, v22, v63
	v_sub_f16_e32 v63, v63, v85
	v_mul_f16_e64 v204, v76, v92
	v_mul_f16_e32 v38, v75, v92
	v_fmac_f16_e64 v172, -0.5, v190
	v_sub_f16_e32 v67, v67, v65
	v_sub_f16_e32 v68, v68, v66
	v_add_f16_e64 v65, v186, v65
	v_fma_f16 v186, -0.5, v187, v24
	v_fmac_f16_e64 v168, -0.5, v153
	v_add_f16_e64 v153, v197, v188
	v_fmac_f16_e64 v171, -0.5, v185
	v_fma_f16 v185, -0.5, v199, v22
	v_pack_b32_f16 v188, v202, v195
	v_pack_b32_f16 v27, v27, v152
	v_fma_f16 v34, v34, v59, -v70
	v_fmac_f16_e64 v71, v177, v59
	v_fma_f16 v32, v32, v60, -v72
	v_fmac_f16_e64 v84, v178, v60
	v_fmac_f16_e64 v175, v180, v57
	;; [unrolled: 1-line block ×3, first 2 shown]
	v_fma_f16 v22, v81, v46, -v205
	v_fmac_f16_e32 v26, v82, v46
	v_add_f16_e32 v81, v64, v39
	v_sub_f16_e64 v82, v88, v184
	v_add_f16_e64 v152, v173, v88
	v_add_f16_e64 v88, v88, v184
	;; [unrolled: 1-line block ×3, first 2 shown]
	v_fmac_f16_e64 v25, -0.5, v194
	v_fma_f16 v35, v35, v57, -v174
	v_fma_f16 v33, v33, v58, -v183
	;; [unrolled: 1-line block ×3, first 2 shown]
	v_fmac_f16_e32 v38, v76, v45
	v_fma_f16 v76, 0xbaee, v63, v172
	v_fmac_f16_e64 v172, 0x3aee, v63
	v_add_f16_e32 v63, v23, v64
	v_add_f16_e64 v182, v191, v182
	v_fma_f16 v70, 0x3aee, v189, v186
	v_fma_f16 v72, 0xbaee, v67, v168
	;; [unrolled: 1-line block ×3, first 2 shown]
	v_fmac_f16_e64 v171, 0x3aee, v68
	v_fma_f16 v68, 0x3aee, v200, v185
	v_sub_f16_e32 v64, v64, v39
	ds_store_2addr_b32 v147, v69, v188 offset1:65
	ds_store_b32 v147, v27 offset:520
	v_fmac_f16_e32 v23, -0.5, v81
	v_fmac_f16_e64 v173, -0.5, v88
	v_add_f16_e32 v69, v34, v32
	v_sub_f16_e32 v81, v71, v84
	v_add_f16_e64 v88, v176, v71
	v_add_f16_e32 v71, v71, v84
	v_sub_f16_e64 v174, v175, v203
	v_add_f16_e64 v177, v179, v175
	v_add_f16_e64 v175, v175, v203
	v_fmac_f16_e64 v186, 0xbaee, v189
	v_fmac_f16_e64 v168, 0x3aee, v67
	v_fma_f16 v67, 0x3aee, v196, v25
	v_pack_b32_f16 v66, v66, v153
	v_add_f16_e64 v153, v35, v33
	v_fmac_f16_e64 v25, 0xbaee, v196
	v_add_f16_e32 v27, v63, v39
	v_add_f16_e64 v39, v152, v184
	v_add_f16_e64 v152, v21, v35
	;; [unrolled: 1-line block ×6, first 2 shown]
	v_pack_b32_f16 v65, v65, v182
	v_add_f16_e32 v63, v20, v34
	v_sub_f16_e32 v34, v34, v32
	v_sub_f16_e32 v35, v35, v33
	v_pack_b32_f16 v70, v70, v72
	v_pack_b32_f16 v68, v68, v76
	v_fmamk_f16 v76, v82, 0x3aee, v23
	v_fmac_f16_e32 v23, 0xbaee, v82
	v_fma_f16 v82, 0xbaee, v64, v173
	v_fma_f16 v20, -0.5, v69, v20
	v_fmac_f16_e64 v176, -0.5, v71
	v_fmac_f16_e64 v179, -0.5, v175
	v_pack_b32_f16 v72, v186, v168
	v_pack_b32_f16 v67, v67, v75
	v_fmac_f16_e64 v21, -0.5, v153
	v_fmac_f16_e64 v185, 0xbaee, v200
	v_sub_f16_e64 v180, v38, v26
	v_sub_f16_e64 v182, v24, v22
	v_pack_b32_f16 v25, v25, v171
	v_add_f16_e64 v33, v152, v33
	v_fma_f16 v152, -0.5, v178, v79
	v_fma_f16 v153, -0.5, v181, v80
	v_pack_b32_f16 v85, v85, v187
	v_fmac_f16_e64 v173, 0x3aee, v64
	v_add_f16_e32 v32, v63, v32
	v_add_f16_e32 v63, v88, v84
	ds_store_2addr_b32 v78, v65, v70 offset0:80 offset1:145
	ds_store_b32 v89, v72 offset:1352
	ds_store_2addr_b32 v149, v66, v67 offset1:65
	ds_store_b32 v149, v25 offset:520
	ds_store_2addr_b32 v86, v85, v68 offset0:134 offset1:199
	v_pack_b32_f16 v25, v27, v39
	v_fmamk_f16 v27, v81, 0x3aee, v20
	v_fma_f16 v39, 0xbaee, v34, v176
	v_fma_f16 v65, 0xbaee, v35, v179
	v_fmac_f16_e64 v179, 0x3aee, v35
	v_pack_b32_f16 v35, v76, v82
	v_fmac_f16_e32 v20, 0xbaee, v81
	v_fmac_f16_e64 v176, 0x3aee, v34
	v_add_f16_e64 v69, v177, v203
	v_fma_f16 v34, 0x3aee, v174, v21
	v_pack_b32_f16 v75, v185, v172
	v_fmac_f16_e64 v21, 0xbaee, v174
	v_fma_f16 v64, 0x3aee, v180, v152
	v_fmac_f16_e64 v152, 0xbaee, v180
	v_fma_f16 v191, 0xbaee, v182, v153
	v_fmac_f16_e64 v153, 0x3aee, v182
	v_pack_b32_f16 v23, v23, v173
	v_pack_b32_f16 v32, v32, v63
	ds_store_2addr_b32 v87, v25, v35 offset0:73 offset1:138
	v_pack_b32_f16 v25, v27, v39
	v_pack_b32_f16 v20, v20, v176
	;; [unrolled: 1-line block ×5, first 2 shown]
	ds_store_b32 v145, v75 offset:2080
	ds_store_b32 v146, v23 offset:2860
	ds_store_2addr_b32 v148, v32, v25 offset1:65
	ds_store_b32 v148, v20 offset:520
	ds_store_2addr_b32 v83, v33, v27 offset0:12 offset1:77
	ds_store_b32 v144, v21 offset:3640
	s_and_saveexec_b32 s1, s0
	s_cbranch_execz .LBB0_11
; %bb.10:
	scratch_load_b32 v23, off, off          ; 4-byte Folded Reload
	v_add_f16_e32 v20, v80, v38
	v_add_f16_e32 v21, v79, v24
	s_delay_alu instid0(VALU_DEP_2) | instskip(NEXT) | instid1(VALU_DEP_2)
	v_add_f16_e32 v20, v20, v26
	v_add_f16_e32 v21, v21, v22
	v_perm_b32 v22, v191, v64, 0x5040100
	s_delay_alu instid0(VALU_DEP_2) | instskip(SKIP_3) | instid1(VALU_DEP_1)
	v_pack_b32_f16 v20, v21, v20
	v_perm_b32 v21, v153, v152, 0x5040100
	s_wait_loadcnt 0x0
	v_lshl_add_u32 v23, v23, 2, v116
	v_add_nc_u32_e32 v24, 0xc00, v23
	ds_store_2addr_b32 v24, v20, v22 offset0:12 offset1:77
	ds_store_b32 v23, v21 offset:3640
.LBB0_11:
	s_wait_alu 0xfffe
	s_or_b32 exec_lo, exec_lo, s1
	v_lshlrev_b32_e32 v20, 4, v42
	v_lshlrev_b32_e32 v21, 4, v73
	global_wb scope:SCOPE_SE
	s_wait_dscnt 0x0
	s_barrier_signal -1
	s_barrier_wait -1
	global_inv scope:SCOPE_SE
	s_clause 0x1
	global_load_b128 v[24:27], v20, s[2:3] offset:728
	global_load_b128 v[20:23], v21, s[2:3] offset:728
	v_add_nc_u32_e32 v79, 0x400, v89
	v_add_nc_u32_e32 v78, 0xc00, v89
	ds_load_2addr_b32 v[32:33], v79 offset0:134 offset1:173
	ds_load_2addr_b32 v[34:35], v78 offset0:12 offset1:51
	v_lshlrev_b64_e32 v[28:29], 4, v[28:29]
	v_add_nc_u32_e32 v83, 0x800, v89
	v_lshlrev_b64_e32 v[38:39], 4, v[30:31]
	ds_load_2addr_b32 v[65:66], v89 offset0:156 offset1:195
	ds_load_2addr_b32 v[75:76], v89 offset1:39
	v_lshl_add_u32 v190, v74, 2, v77
	v_add_co_u32 v30, s1, s2, v28
	s_wait_alu 0xf1ff
	v_add_co_ci_u32_e64 v31, s1, s3, v29, s1
	v_add_co_u32 v28, s1, s2, v38
	s_wait_alu 0xf1ff
	v_add_co_ci_u32_e64 v29, s1, s3, v39, s1
	v_lshlrev_b64_e32 v[36:37], 4, v[36:37]
	v_add_nc_u32_e32 v234, 0x400, v190
	v_add_nc_u32_e32 v249, 0x600, v190
	s_wait_dscnt 0x3
	v_lshrrev_b32_e32 v39, 16, v33
	s_wait_dscnt 0x2
	v_lshrrev_b32_e32 v67, 16, v35
	v_lshrrev_b32_e32 v38, 16, v32
	;; [unrolled: 1-line block ×3, first 2 shown]
	v_add_co_u32 v36, s1, s2, v36
	s_wait_dscnt 0x0
	v_lshrrev_b32_e32 v206, 16, v76
	s_wait_alu 0xf1ff
	v_add_co_ci_u32_e64 v37, s1, s3, v37, s1
	s_add_nc_u64 s[2:3], s[12:13], 0xf3c
	s_wait_loadcnt 0x1
	v_lshrrev_b32_e32 v173, 16, v25
	s_wait_loadcnt 0x0
	v_lshrrev_b32_e32 v168, 16, v23
	v_lshrrev_b32_e32 v171, 16, v21
	;; [unrolled: 1-line block ×4, first 2 shown]
	v_mul_f16_e64 v70, v32, v173
	v_mul_f16_e64 v72, v67, v168
	;; [unrolled: 1-line block ×4, first 2 shown]
	v_lshrrev_b32_e32 v175, 16, v26
	v_mul_f16_e64 v68, v38, v173
	v_fma_f16 v85, v35, v23, -v72
	ds_load_2addr_b32 v[72:73], v83 offset0:34 offset1:73
	v_fma_f16 v82, v33, v21, -v69
	v_mul_f16_e64 v33, v34, v172
	v_mul_f16_e64 v71, v63, v172
	;; [unrolled: 1-line block ×3, first 2 shown]
	v_fmac_f16_e32 v70, v38, v25
	v_lshrrev_b32_e32 v35, 16, v66
	v_fmac_f16_e32 v33, v63, v27
	v_mul_f16_e64 v38, v66, v174
	v_fmac_f16_e32 v81, v39, v21
	v_fma_f16 v32, v32, v25, -v68
	v_fma_f16 v34, v34, v27, -v71
	v_fmac_f16_e32 v84, v67, v23
	v_fmac_f16_e32 v38, v35, v24
	v_mul_f16_e64 v35, v35, v174
	v_lshrrev_b32_e32 v177, 16, v20
	v_lshrrev_b32_e32 v176, 16, v22
	s_delay_alu instid0(VALU_DEP_3) | instskip(SKIP_3) | instid1(VALU_DEP_3)
	v_fma_f16 v35, v66, v24, -v35
	s_wait_dscnt 0x0
	v_lshrrev_b32_e32 v39, 16, v73
	v_mul_f16_e64 v63, v73, v175
	v_sub_f16_e32 v66, v35, v32
	s_delay_alu instid0(VALU_DEP_2) | instskip(SKIP_1) | instid1(VALU_DEP_2)
	v_fmac_f16_e32 v63, v39, v26
	v_mul_f16_e64 v39, v39, v175
	v_sub_f16_e32 v69, v33, v63
	s_delay_alu instid0(VALU_DEP_2) | instskip(SKIP_3) | instid1(VALU_DEP_4)
	v_fma_f16 v39, v73, v26, -v39
	v_add_f16_e32 v71, v70, v63
	v_add_f16_e32 v73, v38, v33
	v_sub_f16_e32 v86, v63, v33
	v_sub_f16_e32 v67, v34, v39
	;; [unrolled: 1-line block ×3, first 2 shown]
	v_add_f16_e32 v87, v32, v39
	s_delay_alu instid0(VALU_DEP_3) | instskip(SKIP_1) | instid1(VALU_DEP_1)
	v_add_f16_e32 v66, v66, v67
	v_sub_f16_e32 v67, v32, v35
	v_add_f16_e32 v67, v67, v68
	v_sub_f16_e32 v68, v38, v70
	s_delay_alu instid0(VALU_DEP_1) | instskip(SKIP_1) | instid1(VALU_DEP_1)
	v_add_f16_e32 v68, v68, v69
	v_lshrrev_b32_e32 v69, 16, v75
	v_fma_f16 v71, -0.5, v71, v69
	v_add_f16_e32 v80, v69, v38
	v_fmac_f16_e32 v69, -0.5, v73
	v_sub_f16_e32 v73, v70, v38
	v_sub_f16_e32 v38, v38, v33
	s_delay_alu instid0(VALU_DEP_4) | instskip(SKIP_1) | instid1(VALU_DEP_4)
	v_add_f16_e32 v80, v80, v70
	v_sub_f16_e32 v70, v70, v63
	v_add_f16_e32 v73, v73, v86
	v_add_f16_e32 v86, v75, v35
	s_delay_alu instid0(VALU_DEP_4) | instskip(SKIP_2) | instid1(VALU_DEP_4)
	v_add_f16_e32 v63, v80, v63
	v_add_f16_e32 v80, v35, v34
	v_sub_f16_e32 v35, v35, v34
	v_add_f16_e32 v86, v86, v32
	v_sub_f16_e32 v32, v32, v39
	v_add_f16_e32 v33, v63, v33
	s_delay_alu instid0(VALU_DEP_3) | instskip(NEXT) | instid1(VALU_DEP_3)
	v_add_f16_e32 v39, v86, v39
	v_fmamk_f16 v63, v32, 0x3b9c, v69
	v_fmac_f16_e32 v69, 0xbb9c, v32
	s_delay_alu instid0(VALU_DEP_3) | instskip(SKIP_4) | instid1(VALU_DEP_4)
	v_add_f16_e32 v34, v39, v34
	v_fma_f16 v39, -0.5, v87, v75
	v_fma_f16 v75, -0.5, v80, v75
	v_fmac_f16_e32 v63, 0xb8b4, v35
	v_fmac_f16_e32 v69, 0x38b4, v35
	v_fmamk_f16 v80, v38, 0x3b9c, v39
	s_delay_alu instid0(VALU_DEP_4)
	v_fmamk_f16 v86, v70, 0xbb9c, v75
	v_fmac_f16_e32 v75, 0x3b9c, v70
	v_fmac_f16_e32 v39, 0xbb9c, v38
	;; [unrolled: 1-line block ×6, first 2 shown]
	v_fmamk_f16 v38, v35, 0xbb9c, v71
	v_fmac_f16_e32 v71, 0x3b9c, v35
	v_fmac_f16_e32 v39, 0xb8b4, v70
	;; [unrolled: 1-line block ×7, first 2 shown]
	v_pack_b32_f16 v32, v34, v33
	v_pack_b32_f16 v34, v86, v63
	v_fmac_f16_e32 v38, 0x34f2, v68
	v_fmac_f16_e32 v71, 0x34f2, v68
	;; [unrolled: 1-line block ×3, first 2 shown]
	ds_load_2addr_b32 v[67:68], v83 offset0:112 offset1:151
	v_fmac_f16_e32 v69, 0x34f2, v73
	v_pack_b32_f16 v33, v80, v38
	v_add_nc_u32_e32 v80, 0x200, v89
	v_pack_b32_f16 v63, v39, v71
	s_delay_alu instid0(VALU_DEP_4)
	v_pack_b32_f16 v35, v75, v69
	ds_load_2addr_b32 v[38:39], v80 offset0:106 offset1:145
	ds_store_b32 v89, v33 offset:780
	ds_store_b32 v89, v34 offset:1560
	ds_store_b32 v89, v35 offset:2340
	ds_store_b32 v89, v63 offset:3120
	s_wait_dscnt 0x5
	v_lshrrev_b32_e32 v69, 16, v67
	v_mul_f16_e64 v203, v67, v176
	s_delay_alu instid0(VALU_DEP_1) | instskip(SKIP_4) | instid1(VALU_DEP_3)
	v_fmac_f16_e64 v203, v69, v22
	v_mul_f16_e64 v69, v69, v176
	s_wait_dscnt 0x4
	v_lshrrev_b32_e32 v66, 16, v38
	v_mul_f16_e64 v88, v38, v177
	v_fma_f16 v205, v67, v22, -v69
	s_delay_alu instid0(VALU_DEP_2) | instskip(SKIP_1) | instid1(VALU_DEP_1)
	v_fmac_f16_e32 v88, v66, v20
	v_mul_f16_e64 v66, v66, v177
	v_fma_f16 v204, v38, v20, -v66
	s_delay_alu instid0(VALU_DEP_3) | instskip(NEXT) | instid1(VALU_DEP_2)
	v_add_f16_e64 v66, v206, v88
	v_add_f16_e64 v38, v76, v204
	s_delay_alu instid0(VALU_DEP_2) | instskip(NEXT) | instid1(VALU_DEP_2)
	v_add_f16_e32 v66, v66, v81
	v_add_f16_e32 v38, v38, v82
	s_delay_alu instid0(VALU_DEP_2) | instskip(NEXT) | instid1(VALU_DEP_2)
	v_add_f16_e64 v66, v66, v203
	v_add_f16_e64 v38, v38, v205
	s_delay_alu instid0(VALU_DEP_2) | instskip(NEXT) | instid1(VALU_DEP_2)
	v_add_f16_e32 v66, v66, v84
	v_add_f16_e32 v38, v38, v85
	s_delay_alu instid0(VALU_DEP_1)
	v_pack_b32_f16 v38, v38, v66
	ds_load_b32 v63, v89 offset:3744
	ds_load_2addr_b32 v[66:67], v89 offset0:78 offset1:117
	ds_load_2addr_b32 v[69:70], v79 offset0:212 offset1:251
	;; [unrolled: 1-line block ×5, first 2 shown]
	ds_store_2addr_b32 v89, v32, v38 offset1:39
	s_clause 0x1
	global_load_b128 v[32:35], v[30:31], off offset:728
	global_load_b128 v[28:31], v[28:29], off offset:728
	v_lshrrev_b32_e32 v38, 16, v39
	s_wait_dscnt 0x5
	v_lshrrev_b32_e32 v193, 16, v66
	v_lshrrev_b32_e32 v195, 16, v67
	s_wait_loadcnt 0x1
	v_lshrrev_b32_e32 v181, 16, v32
	v_lshrrev_b32_e32 v180, 16, v34
	;; [unrolled: 1-line block ×3, first 2 shown]
	s_wait_loadcnt 0x0
	v_lshrrev_b32_e32 v179, 16, v29
	v_lshrrev_b32_e32 v182, 16, v35
	v_mul_f16_e64 v71, v38, v181
	v_mul_f16_e64 v209, v68, v180
	s_wait_dscnt 0x4
	v_mul_f16_e64 v212, v69, v183
	v_mul_f16_e64 v213, v70, v179
	v_lshrrev_b32_e32 v178, 16, v31
	v_fma_f16 v207, v39, v32, -v71
	v_lshrrev_b32_e32 v71, 16, v68
	v_mul_f16_e64 v39, v39, v181
	v_lshrrev_b32_e32 v184, 16, v30
	v_lshrrev_b32_e32 v185, 16, v28
	s_delay_alu instid0(VALU_DEP_4) | instskip(NEXT) | instid1(VALU_DEP_4)
	v_mul_f16_e64 v73, v71, v180
	v_fmac_f16_e32 v39, v38, v32
	v_fmac_f16_e64 v209, v71, v34
	s_wait_dscnt 0x1
	v_mul_f16_e64 v217, v198, v184
	v_fma_f16 v208, v68, v34, -v73
	v_lshrrev_b32_e32 v68, 16, v69
	v_add_f16_e64 v216, v193, v39
	s_delay_alu instid0(VALU_DEP_2) | instskip(SKIP_1) | instid1(VALU_DEP_2)
	v_mul_f16_e64 v73, v68, v183
	v_fmac_f16_e64 v212, v68, v33
	v_fma_f16 v210, v69, v33, -v73
	v_lshrrev_b32_e32 v73, 16, v70
	v_lshrrev_b32_e32 v69, 16, v86
	s_delay_alu instid0(VALU_DEP_4) | instskip(NEXT) | instid1(VALU_DEP_4)
	v_sub_f16_e64 v222, v212, v209
	v_sub_f16_e64 v38, v210, v207
	s_delay_alu instid0(VALU_DEP_4) | instskip(SKIP_2) | instid1(VALU_DEP_3)
	v_mul_f16_e64 v75, v73, v179
	v_fmac_f16_e64 v213, v73, v29
	v_sub_f16_e64 v223, v210, v208
	v_fma_f16 v211, v70, v29, -v75
	v_mul_f16_e64 v70, v69, v182
	s_delay_alu instid0(VALU_DEP_1) | instskip(SKIP_2) | instid1(VALU_DEP_3)
	v_fma_f16 v214, v86, v35, -v70
	v_mul_f16_e64 v86, v86, v182
	v_lshrrev_b32_e32 v70, 16, v87
	v_sub_f16_e64 v68, v208, v214
	s_delay_alu instid0(VALU_DEP_3) | instskip(NEXT) | instid1(VALU_DEP_3)
	v_fmac_f16_e32 v86, v69, v35
	v_mul_f16_e64 v75, v70, v178
	v_mul_f16_e64 v69, v186, v185
	v_sub_f16_e64 v227, v207, v214
	v_add_f16_e32 v73, v38, v68
	v_add_f16_e64 v38, v212, v209
	v_sub_f16_e64 v68, v209, v86
	v_fma_f16 v215, v87, v31, -v75
	v_mul_f16_e64 v87, v87, v178
	v_sub_f16_e64 v226, v39, v86
	v_fma_f16 v194, -0.5, v38, v193
	v_add_f16_e32 v38, v39, v86
	s_delay_alu instid0(VALU_DEP_4) | instskip(NEXT) | instid1(VALU_DEP_2)
	v_fmac_f16_e32 v87, v70, v31
	v_fmac_f16_e64 v193, -0.5, v38
	v_sub_f16_e64 v38, v212, v39
	v_sub_f16_e64 v39, v39, v212
	s_delay_alu instid0(VALU_DEP_3) | instskip(NEXT) | instid1(VALU_DEP_3)
	v_fma_f16 v201, 0x3b9c, v223, v193
	v_add_f16_e32 v75, v38, v68
	v_lshrrev_b32_e32 v38, 16, v198
	v_lshrrev_b32_e32 v68, 16, v186
	v_fmac_f16_e64 v193, 0xbb9c, v223
	v_fmac_f16_e64 v201, 0xb8b4, v227
	s_delay_alu instid0(VALU_DEP_4)
	v_fmac_f16_e64 v217, v38, v30
	v_mul_f16_e64 v38, v38, v184
	v_fmac_f16_e32 v69, v68, v28
	v_mul_f16_e64 v68, v68, v185
	v_fmac_f16_e64 v193, 0x38b4, v227
	v_sub_f16_e64 v224, v213, v217
	v_fma_f16 v218, v198, v30, -v38
	v_add_f16_e64 v220, v195, v69
	v_fma_f16 v38, v186, v28, -v68
	v_sub_f16_e64 v228, v69, v87
	v_fmac_f16_e64 v193, 0x34f2, v75
	v_add_f16_e64 v68, v211, v218
	v_sub_f16_e64 v71, v218, v215
	v_add_f16_e64 v70, v38, v215
	v_add_f16_e64 v219, v67, v38
	v_sub_f16_e64 v225, v211, v218
	v_fma_f16 v68, -0.5, v68, v67
	v_sub_f16_e64 v229, v38, v215
	v_fmac_f16_e32 v67, -0.5, v70
	v_sub_f16_e64 v70, v211, v38
	v_sub_f16_e64 v38, v38, v211
	v_fmac_f16_e64 v201, 0x34f2, v75
	s_delay_alu instid0(VALU_DEP_3) | instskip(SKIP_2) | instid1(VALU_DEP_2)
	v_add_f16_e64 v202, v70, v71
	v_add_f16_e64 v70, v213, v217
	v_sub_f16_e64 v71, v217, v87
	v_fma_f16 v196, -0.5, v70, v195
	v_add_f16_e32 v70, v69, v87
	s_delay_alu instid0(VALU_DEP_2) | instskip(NEXT) | instid1(VALU_DEP_2)
	v_fma_f16 v198, 0xbb9c, v229, v196
	v_fmac_f16_e64 v195, -0.5, v70
	v_sub_f16_e64 v70, v213, v69
	v_fmac_f16_e64 v196, 0x3b9c, v229
	s_delay_alu instid0(VALU_DEP_4) | instskip(NEXT) | instid1(VALU_DEP_4)
	v_fmac_f16_e64 v198, 0xb8b4, v225
	v_fma_f16 v197, 0x3b9c, v225, v195
	s_delay_alu instid0(VALU_DEP_4)
	v_add_f16_e64 v221, v70, v71
	v_add_f16_e64 v70, v207, v214
	v_fmac_f16_e64 v195, 0xbb9c, v225
	v_add_nc_u32_e32 v71, 0x800, v190
	v_fmac_f16_e64 v197, 0xb8b4, v229
	v_fmac_f16_e64 v196, 0x38b4, v225
	v_fma_f16 v192, -0.5, v70, v66
	v_fma_f16 v70, 0xbb9c, v224, v67
	v_fmac_f16_e64 v67, 0x3b9c, v224
	v_fmac_f16_e64 v195, 0x38b4, v229
	;; [unrolled: 1-line block ×3, first 2 shown]
	v_fma_f16 v200, 0xbb9c, v222, v192
	v_fmac_f16_e64 v192, 0x3b9c, v222
	v_fmac_f16_e64 v67, 0xb8b4, v228
	;; [unrolled: 1-line block ×7, first 2 shown]
	v_sub_f16_e64 v225, v88, v84
	v_fmac_f16_e64 v70, 0x34f2, v202
	v_fmac_f16_e64 v200, 0x34f2, v73
	;; [unrolled: 1-line block ×3, first 2 shown]
	v_pack_b32_f16 v186, v67, v195
	s_delay_alu instid0(VALU_DEP_4) | instskip(NEXT) | instid1(VALU_DEP_4)
	v_pack_b32_f16 v221, v70, v197
	v_pack_b32_f16 v75, v200, v201
	s_delay_alu instid0(VALU_DEP_4) | instskip(SKIP_3) | instid1(VALU_DEP_1)
	v_pack_b32_f16 v74, v192, v193
	ds_store_2addr_b32 v71, v74, v186 offset0:151 offset1:190
	v_sub_f16_e64 v71, v207, v210
	v_sub_f16_e64 v74, v214, v208
	v_add_f16_e64 v230, v71, v74
	v_sub_f16_e64 v71, v86, v209
	v_lshrrev_b32_e32 v74, 16, v187
	s_delay_alu instid0(VALU_DEP_2) | instskip(SKIP_1) | instid1(VALU_DEP_1)
	v_add_f16_e64 v231, v39, v71
	v_sub_f16_e64 v39, v215, v218
	v_add_f16_e64 v232, v38, v39
	v_sub_f16_e64 v38, v69, v213
	v_sub_f16_e64 v39, v87, v217
	v_fma_f16 v69, 0x3b9c, v228, v68
	v_fmac_f16_e64 v68, 0xbb9c, v228
	s_delay_alu instid0(VALU_DEP_3)
	v_add_f16_e64 v233, v38, v39
	v_add_f16_e64 v38, v210, v208
	v_fma_f16 v39, 0xbb9c, v227, v194
	v_fmac_f16_e64 v69, 0x38b4, v224
	v_fmac_f16_e64 v194, 0x3b9c, v227
	;; [unrolled: 1-line block ×3, first 2 shown]
	v_fma_f16 v71, -0.5, v38, v66
	v_fmac_f16_e64 v39, 0xb8b4, v223
	v_fmac_f16_e64 v69, 0x34f2, v232
	v_fmac_f16_e64 v194, 0x38b4, v223
	v_fmac_f16_e64 v68, 0xb8b4, v224
	v_fma_f16 v38, 0x3b9c, v226, v71
	v_fmac_f16_e64 v39, 0x34f2, v231
	v_fmac_f16_e64 v71, 0xbb9c, v226
	;; [unrolled: 1-line block ×3, first 2 shown]
	v_add_nc_u32_e32 v223, 0xa00, v190
	v_fmac_f16_e64 v38, 0x38b4, v222
	v_fmac_f16_e64 v68, 0x34f2, v232
	;; [unrolled: 1-line block ×4, first 2 shown]
	v_sub_f16_e64 v226, v204, v85
	v_fmac_f16_e64 v38, 0x34f2, v230
	v_add_f16_e64 v66, v66, v207
	v_fmac_f16_e64 v71, 0x34f2, v230
	v_add_f16_e64 v207, v220, v213
	s_delay_alu instid0(VALU_DEP_4) | instskip(SKIP_2) | instid1(VALU_DEP_4)
	v_pack_b32_f16 v38, v38, v39
	v_pack_b32_f16 v39, v69, v198
	v_add_f16_e64 v66, v66, v210
	v_add_f16_e64 v207, v207, v217
	ds_store_2addr_b32 v234, v38, v39 offset0:17 offset1:56
	global_load_b128 v[36:39], v[36:37], off offset:728
	v_add_f16_e64 v66, v66, v208
	s_delay_alu instid0(VALU_DEP_1) | instskip(SKIP_4) | instid1(VALU_DEP_2)
	v_add_f16_e64 v208, v66, v214
	v_add_f16_e64 v66, v207, v87
	s_wait_loadcnt 0x0
	v_lshrrev_b32_e32 v188, 16, v36
	v_lshrrev_b32_e32 v189, 16, v37
	v_mul_f16_e64 v186, v74, v188
	v_mul_f16_e64 v236, v187, v188
	s_delay_alu instid0(VALU_DEP_3) | instskip(NEXT) | instid1(VALU_DEP_3)
	v_mul_f16_e64 v238, v72, v189
	v_fma_f16 v235, v187, v36, -v186
	v_lshrrev_b32_e32 v186, 16, v72
	s_delay_alu instid0(VALU_DEP_4) | instskip(NEXT) | instid1(VALU_DEP_2)
	v_fmac_f16_e64 v236, v74, v36
	v_mul_f16_e64 v187, v186, v189
	v_fmac_f16_e64 v238, v186, v37
	v_lshrrev_b32_e32 v186, 16, v39
	s_delay_alu instid0(VALU_DEP_3) | instskip(SKIP_2) | instid1(VALU_DEP_4)
	v_fma_f16 v237, v72, v37, -v187
	v_lshrrev_b32_e32 v187, 16, v38
	v_lshrrev_b32_e32 v72, 16, v199
	v_mul_f16_e64 v242, v63, v186
	v_sub_f16_e64 v73, v236, v238
	s_delay_alu instid0(VALU_DEP_4) | instskip(NEXT) | instid1(VALU_DEP_4)
	v_mul_f16_e64 v240, v199, v187
	v_mul_f16_e64 v239, v72, v187
	s_delay_alu instid0(VALU_DEP_2) | instskip(SKIP_1) | instid1(VALU_DEP_3)
	v_fmac_f16_e64 v240, v72, v38
	v_lshrrev_b32_e32 v72, 16, v63
	v_fma_f16 v239, v199, v38, -v239
	v_lshrrev_b32_e32 v199, 16, v65
	s_delay_alu instid0(VALU_DEP_4) | instskip(NEXT) | instid1(VALU_DEP_4)
	v_sub_f16_e64 v244, v238, v240
	v_mul_f16_e64 v74, v72, v186
	v_fmac_f16_e64 v242, v72, v39
	v_sub_f16_e64 v72, v235, v237
	v_sub_f16_e64 v246, v237, v239
	s_delay_alu instid0(VALU_DEP_4) | instskip(SKIP_2) | instid1(VALU_DEP_3)
	v_fma_f16 v241, v63, v39, -v74
	v_add_f16_e64 v63, v237, v239
	v_sub_f16_e64 v243, v236, v242
	v_sub_f16_e64 v74, v241, v239
	s_delay_alu instid0(VALU_DEP_3) | instskip(SKIP_1) | instid1(VALU_DEP_3)
	v_fma_f16 v63, -0.5, v63, v65
	v_sub_f16_e64 v245, v235, v241
	v_add_f16_e32 v72, v72, v74
	v_sub_f16_e64 v74, v242, v240
	s_delay_alu instid0(VALU_DEP_1) | instskip(SKIP_1) | instid1(VALU_DEP_1)
	v_add_f16_e32 v73, v73, v74
	v_add_f16_e64 v74, v238, v240
	v_fma_f16 v200, -0.5, v74, v199
	v_fma_f16 v74, 0x3b9c, v243, v63
	v_fmac_f16_e64 v63, 0xbb9c, v243
	s_delay_alu instid0(VALU_DEP_3) | instskip(NEXT) | instid1(VALU_DEP_3)
	v_fma_f16 v201, 0xbb9c, v245, v200
	v_fmac_f16_e64 v74, 0x38b4, v244
	v_fmac_f16_e64 v200, 0x3b9c, v245
	s_delay_alu instid0(VALU_DEP_4) | instskip(NEXT) | instid1(VALU_DEP_4)
	v_fmac_f16_e64 v63, 0xb8b4, v244
	v_fmac_f16_e64 v201, 0xb8b4, v246
	s_delay_alu instid0(VALU_DEP_4) | instskip(NEXT) | instid1(VALU_DEP_4)
	v_fmac_f16_e32 v74, 0x34f2, v72
	v_fmac_f16_e64 v200, 0x38b4, v246
	s_delay_alu instid0(VALU_DEP_4) | instskip(SKIP_2) | instid1(VALU_DEP_4)
	v_fmac_f16_e32 v63, 0x34f2, v72
	v_pack_b32_f16 v72, v68, v196
	v_fmac_f16_e64 v201, 0x34f2, v73
	v_fmac_f16_e64 v200, 0x34f2, v73
	s_delay_alu instid0(VALU_DEP_2) | instskip(NEXT) | instid1(VALU_DEP_2)
	v_pack_b32_f16 v247, v74, v201
	v_pack_b32_f16 v73, v63, v200
	ds_store_2addr_b32 v234, v247, v75 offset0:95 offset1:212
	v_add_f16_e64 v75, v235, v241
	v_add_f16_e64 v234, v65, v235
	;; [unrolled: 1-line block ×3, first 2 shown]
	s_delay_alu instid0(VALU_DEP_3) | instskip(SKIP_2) | instid1(VALU_DEP_1)
	v_fmac_f16_e32 v65, -0.5, v75
	v_sub_f16_e64 v75, v237, v235
	v_sub_f16_e64 v235, v239, v241
	v_add_f16_e64 v235, v75, v235
	v_add_f16_e64 v75, v236, v242
	s_delay_alu instid0(VALU_DEP_1) | instskip(SKIP_2) | instid1(VALU_DEP_3)
	v_fmac_f16_e64 v199, -0.5, v75
	v_sub_f16_e64 v75, v238, v236
	v_sub_f16_e64 v236, v240, v242
	v_fma_f16 v202, 0x3b9c, v246, v199
	v_fmac_f16_e64 v199, 0xbb9c, v246
	s_delay_alu instid0(VALU_DEP_3) | instskip(SKIP_4) | instid1(VALU_DEP_4)
	v_add_f16_e64 v236, v75, v236
	v_fma_f16 v75, 0xbb9c, v244, v65
	v_fmac_f16_e64 v65, 0x3b9c, v244
	v_fmac_f16_e64 v202, 0xb8b4, v245
	;; [unrolled: 1-line block ×4, first 2 shown]
	s_delay_alu instid0(VALU_DEP_4) | instskip(NEXT) | instid1(VALU_DEP_4)
	v_fmac_f16_e64 v65, 0xb8b4, v243
	v_fmac_f16_e64 v202, 0x34f2, v236
	s_delay_alu instid0(VALU_DEP_4) | instskip(NEXT) | instid1(VALU_DEP_4)
	v_fmac_f16_e64 v199, 0x34f2, v236
	v_fmac_f16_e64 v75, 0x34f2, v235
	s_delay_alu instid0(VALU_DEP_4) | instskip(NEXT) | instid1(VALU_DEP_2)
	v_fmac_f16_e64 v65, 0x34f2, v235
	v_pack_b32_f16 v248, v75, v202
	s_delay_alu instid0(VALU_DEP_2)
	v_pack_b32_f16 v222, v65, v199
	ds_store_2addr_b32 v249, v221, v248 offset0:123 offset1:162
	v_pack_b32_f16 v221, v71, v194
	ds_store_2addr_b32 v223, v222, v221 offset0:101 offset1:218
	v_add_nc_u32_e32 v221, 0xc00, v190
	v_sub_f16_e64 v223, v82, v205
	ds_store_2addr_b32 v221, v72, v73 offset0:129 offset1:168
	v_add_f16_e64 v72, v219, v211
	v_add_f16_e64 v211, v82, v205
	;; [unrolled: 1-line block ×3, first 2 shown]
	v_sub_f16_e64 v221, v203, v84
	v_sub_f16_e64 v84, v84, v203
	v_add_f16_e64 v72, v72, v218
	v_fma_f16 v211, -0.5, v211, v76
	v_sub_f16_e64 v218, v205, v85
	v_add_f16_e64 v73, v234, v237
	s_delay_alu instid0(VALU_DEP_4) | instskip(SKIP_2) | instid1(VALU_DEP_4)
	v_add_f16_e64 v72, v72, v215
	v_add_f16_e64 v215, v204, v85
	v_sub_f16_e64 v85, v85, v205
	v_add_f16_e64 v73, v73, v239
	s_delay_alu instid0(VALU_DEP_4) | instskip(NEXT) | instid1(VALU_DEP_4)
	v_pack_b32_f16 v87, v72, v66
	v_fmac_f16_e64 v76, -0.5, v215
	v_sub_f16_e64 v215, v82, v204
	v_sub_f16_e64 v82, v204, v82
	v_add_f16_e64 v73, v73, v241
	s_delay_alu instid0(VALU_DEP_3) | instskip(SKIP_1) | instid1(VALU_DEP_4)
	v_add_f16_e64 v215, v215, v218
	v_add_f16_e64 v218, v81, v203
	v_add_f16_e32 v82, v82, v85
	s_delay_alu instid0(VALU_DEP_2) | instskip(SKIP_2) | instid1(VALU_DEP_3)
	v_fma_f16 v218, -0.5, v218, v206
	v_fmac_f16_e64 v206, -0.5, v219
	v_sub_f16_e64 v219, v81, v88
	v_fma_f16 v85, 0xbb9c, v226, v218
	s_delay_alu instid0(VALU_DEP_3) | instskip(NEXT) | instid1(VALU_DEP_3)
	v_fma_f16 v224, 0x3b9c, v223, v206
	v_add_f16_e64 v219, v219, v221
	v_sub_f16_e64 v221, v81, v203
	v_fmac_f16_e64 v206, 0xbb9c, v223
	v_sub_f16_e32 v81, v88, v81
	v_fmac_f16_e64 v218, 0x3b9c, v226
	v_fmac_f16_e64 v224, 0xb8b4, v226
	v_fma_f16 v222, 0xbb9c, v221, v76
	v_fmac_f16_e64 v76, 0x3b9c, v221
	v_fmac_f16_e64 v206, 0x38b4, v226
	v_add_f16_e32 v81, v81, v84
	v_fma_f16 v84, 0x3b9c, v225, v211
	v_fmac_f16_e64 v211, 0xbb9c, v225
	v_fmac_f16_e64 v76, 0xb8b4, v225
	;; [unrolled: 1-line block ×9, first 2 shown]
	v_fmac_f16_e32 v84, 0x34f2, v82
	v_fmac_f16_e64 v211, 0x34f2, v82
	v_pack_b32_f16 v76, v76, v206
	v_add_f16_e64 v206, v216, v212
	v_fmac_f16_e64 v218, 0x34f2, v81
	v_fmac_f16_e64 v222, 0x34f2, v215
	;; [unrolled: 1-line block ×3, first 2 shown]
	v_fmac_f16_e32 v85, 0x34f2, v81
	v_add_f16_e64 v206, v206, v209
	v_pack_b32_f16 v81, v211, v218
	s_delay_alu instid0(VALU_DEP_3) | instskip(NEXT) | instid1(VALU_DEP_3)
	v_pack_b32_f16 v84, v84, v85
	v_add_f16_e64 v86, v206, v86
	s_delay_alu instid0(VALU_DEP_1)
	v_pack_b32_f16 v86, v208, v86
	ds_store_2addr_b32 v89, v86, v87 offset0:78 offset1:117
	v_add_f16_e64 v86, v247, v238
	ds_store_b32 v89, v76 offset:2496
	ds_store_b32 v89, v81 offset:3276
	v_add_f16_e64 v82, v86, v240
	s_delay_alu instid0(VALU_DEP_1) | instskip(SKIP_1) | instid1(VALU_DEP_2)
	v_add_f16_e64 v203, v82, v242
	v_pack_b32_f16 v82, v222, v224
	v_pack_b32_f16 v76, v73, v203
	ds_store_b32 v89, v82 offset:1716
	ds_store_b32 v89, v84 offset:936
	;; [unrolled: 1-line block ×3, first 2 shown]
	global_wb scope:SCOPE_SE
	s_wait_dscnt 0x0
	s_barrier_signal -1
	s_barrier_wait -1
	global_inv scope:SCOPE_SE
	global_load_b32 v76, v[40:41], off offset:3900
	ds_load_2addr_b32 v[81:82], v89 offset1:75
	s_wait_dscnt 0x0
	v_lshrrev_b32_e32 v85, 16, v81
	s_wait_loadcnt 0x0
	v_lshrrev_b32_e32 v84, 16, v76
	s_delay_alu instid0(VALU_DEP_1) | instskip(NEXT) | instid1(VALU_DEP_3)
	v_mul_f16_e32 v86, v81, v84
	v_mul_f16_e32 v84, v85, v84
	s_delay_alu instid0(VALU_DEP_2) | instskip(NEXT) | instid1(VALU_DEP_2)
	v_fmac_f16_e32 v86, v85, v76
	v_fma_f16 v85, v81, v76, -v84
	s_clause 0x7
	global_load_b32 v76, v77, s[2:3] offset:300
	global_load_b32 v84, v77, s[2:3] offset:600
	;; [unrolled: 1-line block ×8, first 2 shown]
	v_lshrrev_b32_e32 v81, 16, v82
	v_pack_b32_f16 v85, v85, v86
	s_wait_loadcnt 0x7
	v_lshrrev_b32_e32 v208, 16, v76
	s_delay_alu instid0(VALU_DEP_1) | instskip(SKIP_1) | instid1(VALU_DEP_2)
	v_mul_f16_e64 v209, v81, v208
	v_mul_f16_e64 v208, v82, v208
	v_fma_f16 v209, v82, v76, -v209
	s_delay_alu instid0(VALU_DEP_2)
	v_fmac_f16_e64 v208, v81, v76
	ds_load_2addr_b32 v[81:82], v89 offset0:150 offset1:225
	s_wait_loadcnt 0x6
	v_lshrrev_b32_e32 v76, 16, v84
	v_pack_b32_f16 v86, v209, v208
	s_wait_dscnt 0x0
	v_lshrrev_b32_e32 v210, 16, v81
	s_delay_alu instid0(VALU_DEP_3) | instskip(NEXT) | instid1(VALU_DEP_2)
	v_mul_f16_e64 v211, v81, v76
	v_mul_f16_e64 v76, v210, v76
	s_delay_alu instid0(VALU_DEP_2) | instskip(NEXT) | instid1(VALU_DEP_2)
	v_fmac_f16_e64 v211, v210, v84
	v_fma_f16 v210, v81, v84, -v76
	v_lshrrev_b32_e32 v76, 16, v82
	s_wait_loadcnt 0x5
	v_lshrrev_b32_e32 v81, 16, v87
	s_delay_alu instid0(VALU_DEP_1) | instskip(SKIP_1) | instid1(VALU_DEP_2)
	v_mul_f16_e32 v84, v76, v81
	v_mul_f16_e64 v212, v82, v81
	v_fma_f16 v213, v82, v87, -v84
	ds_load_2addr_b32 v[81:82], v79 offset0:44 offset1:119
	v_fmac_f16_e64 v212, v76, v87
	s_wait_loadcnt 0x4
	v_lshrrev_b32_e32 v76, 16, v88
	s_wait_dscnt 0x0
	v_lshrrev_b32_e32 v84, 16, v81
	s_delay_alu instid0(VALU_DEP_2) | instskip(NEXT) | instid1(VALU_DEP_2)
	v_mul_f16_e32 v87, v81, v76
	v_mul_f16_e32 v76, v84, v76
	s_delay_alu instid0(VALU_DEP_2) | instskip(NEXT) | instid1(VALU_DEP_2)
	v_fmac_f16_e32 v87, v84, v88
	v_fma_f16 v88, v81, v88, -v76
	s_wait_loadcnt 0x3
	v_lshrrev_b32_e32 v81, 16, v204
	v_lshrrev_b32_e32 v76, 16, v82
	s_delay_alu instid0(VALU_DEP_2) | instskip(NEXT) | instid1(VALU_DEP_2)
	v_mul_f16_e64 v214, v82, v81
	v_mul_f16_e32 v84, v76, v81
	s_delay_alu instid0(VALU_DEP_2) | instskip(SKIP_1) | instid1(VALU_DEP_3)
	v_fmac_f16_e64 v214, v76, v204
	v_add_nc_u32_e32 v76, 0x600, v89
	v_fma_f16 v215, v82, v204, -v84
	s_wait_loadcnt 0x2
	v_lshrrev_b32_e32 v84, 16, v205
	ds_load_2addr_b32 v[81:82], v76 offset0:66 offset1:141
	s_wait_dscnt 0x0
	v_lshrrev_b32_e32 v204, 16, v81
	v_mul_f16_e64 v216, v81, v84
	s_delay_alu instid0(VALU_DEP_2) | instskip(NEXT) | instid1(VALU_DEP_2)
	v_mul_f16_e64 v84, v204, v84
	v_fmac_f16_e64 v216, v204, v205
	s_delay_alu instid0(VALU_DEP_2) | instskip(SKIP_3) | instid1(VALU_DEP_1)
	v_fma_f16 v204, v81, v205, -v84
	v_lshrrev_b32_e32 v81, 16, v82
	s_wait_loadcnt 0x1
	v_lshrrev_b32_e32 v84, 16, v206
	v_mul_f16_e64 v205, v81, v84
	v_mul_f16_e64 v217, v82, v84
	s_wait_loadcnt 0x0
	v_lshrrev_b32_e32 v84, 16, v207
	s_delay_alu instid0(VALU_DEP_3) | instskip(NEXT) | instid1(VALU_DEP_3)
	v_fma_f16 v205, v82, v206, -v205
	v_fmac_f16_e64 v217, v81, v206
	ds_load_2addr_b32 v[81:82], v83 offset0:88 offset1:163
	s_wait_dscnt 0x0
	v_lshrrev_b32_e32 v206, 16, v81
	v_mul_f16_e64 v218, v81, v84
	s_delay_alu instid0(VALU_DEP_2) | instskip(NEXT) | instid1(VALU_DEP_2)
	v_mul_f16_e64 v84, v206, v84
	v_fmac_f16_e64 v218, v206, v207
	s_delay_alu instid0(VALU_DEP_2)
	v_fma_f16 v206, v81, v207, -v84
	s_clause 0x3
	global_load_b32 v81, v77, s[2:3] offset:2700
	global_load_b32 v207, v77, s[2:3] offset:3000
	;; [unrolled: 1-line block ×4, first 2 shown]
	v_lshrrev_b32_e32 v84, 16, v82
	ds_store_2addr_b32 v89, v85, v86 offset1:75
	v_pack_b32_f16 v85, v210, v211
	v_pack_b32_f16 v86, v213, v212
	ds_store_2addr_b32 v89, v85, v86 offset0:150 offset1:225
	v_pack_b32_f16 v85, v88, v87
	v_pack_b32_f16 v86, v215, v214
	ds_store_2addr_b32 v79, v85, v86 offset0:44 offset1:119
	;; [unrolled: 3-line block ×3, first 2 shown]
	v_pack_b32_f16 v85, v206, v218
	s_wait_loadcnt 0x3
	v_lshrrev_b32_e32 v221, 16, v81
	s_wait_loadcnt 0x2
	v_lshrrev_b32_e32 v223, 16, v207
	s_delay_alu instid0(VALU_DEP_2) | instskip(SKIP_1) | instid1(VALU_DEP_2)
	v_mul_f16_e64 v222, v84, v221
	v_mul_f16_e64 v221, v82, v221
	v_fma_f16 v222, v82, v81, -v222
	s_delay_alu instid0(VALU_DEP_2) | instskip(SKIP_1) | instid1(VALU_DEP_2)
	v_fmac_f16_e64 v221, v84, v81
	v_add_nc_u32_e32 v84, 0xa00, v89
	v_pack_b32_f16 v86, v222, v221
	ds_load_2addr_b32 v[81:82], v84 offset0:110 offset1:185
	ds_store_2addr_b32 v83, v85, v86 offset0:88 offset1:163
	s_wait_dscnt 0x1
	v_lshrrev_b32_e32 v224, 16, v81
	v_mul_f16_e64 v225, v81, v223
	s_delay_alu instid0(VALU_DEP_2) | instskip(NEXT) | instid1(VALU_DEP_2)
	v_mul_f16_e64 v223, v224, v223
	v_fmac_f16_e64 v225, v224, v207
	s_delay_alu instid0(VALU_DEP_2) | instskip(SKIP_3) | instid1(VALU_DEP_3)
	v_fma_f16 v81, v81, v207, -v223
	v_lshrrev_b32_e32 v207, 16, v82
	s_wait_loadcnt 0x1
	v_lshrrev_b32_e32 v223, 16, v219
	v_pack_b32_f16 v81, v81, v225
	s_delay_alu instid0(VALU_DEP_2) | instskip(SKIP_1) | instid1(VALU_DEP_2)
	v_mul_f16_e64 v224, v207, v223
	v_mul_f16_e64 v223, v82, v223
	v_fma_f16 v82, v82, v219, -v224
	s_delay_alu instid0(VALU_DEP_2)
	v_fmac_f16_e64 v223, v207, v219
	ds_load_b32 v207, v89 offset:3600
	s_wait_loadcnt 0x0
	v_lshrrev_b32_e32 v224, 16, v220
	v_pack_b32_f16 v82, v82, v223
	ds_store_2addr_b32 v84, v81, v82 offset0:110 offset1:185
	s_wait_dscnt 0x1
	v_lshrrev_b32_e32 v219, 16, v207
	s_delay_alu instid0(VALU_DEP_1) | instskip(SKIP_1) | instid1(VALU_DEP_2)
	v_mul_f16_e64 v226, v219, v224
	v_mul_f16_e64 v224, v207, v224
	v_fma_f16 v207, v207, v220, -v226
	s_delay_alu instid0(VALU_DEP_2) | instskip(NEXT) | instid1(VALU_DEP_1)
	v_fmac_f16_e64 v224, v219, v220
	v_pack_b32_f16 v81, v207, v224
	ds_store_b32 v89, v81 offset:3600
	s_and_saveexec_b32 s1, vcc_lo
	s_cbranch_execz .LBB0_13
; %bb.12:
	s_wait_alu 0xfffe
	v_add_co_u32 v81, s2, s2, v77
	s_wait_alu 0xf1ff
	v_add_co_ci_u32_e64 v82, null, s3, 0, s2
	s_clause 0xc
	global_load_b32 v77, v[81:82], off offset:156
	global_load_b32 v210, v[81:82], off offset:456
	;; [unrolled: 1-line block ×13, first 2 shown]
	ds_load_2addr_b32 v[81:82], v89 offset0:39 offset1:114
	ds_load_2addr_b32 v[85:86], v80 offset0:61 offset1:136
	;; [unrolled: 1-line block ×6, first 2 shown]
	ds_load_b32 v222, v89 offset:3756
	s_wait_dscnt 0x6
	v_lshrrev_b32_e32 v223, 16, v81
	v_lshrrev_b32_e32 v224, 16, v82
	s_wait_dscnt 0x5
	v_lshrrev_b32_e32 v225, 16, v85
	v_lshrrev_b32_e32 v227, 16, v86
	;; [unrolled: 3-line block ×4, first 2 shown]
	s_wait_loadcnt 0xc
	v_lshrrev_b32_e32 v226, 16, v77
	s_wait_loadcnt 0xb
	v_lshrrev_b32_e32 v230, 16, v210
	s_delay_alu instid0(VALU_DEP_2) | instskip(SKIP_1) | instid1(VALU_DEP_3)
	v_mul_f16_e64 v231, v81, v226
	v_mul_f16_e64 v226, v223, v226
	;; [unrolled: 1-line block ×4, first 2 shown]
	s_delay_alu instid0(VALU_DEP_4)
	v_fmac_f16_e64 v231, v223, v77
	s_wait_loadcnt 0xa
	v_lshrrev_b32_e32 v223, 16, v211
	v_fma_f16 v77, v81, v77, -v226
	v_fma_f16 v82, v82, v210, -v234
	s_wait_loadcnt 0x9
	v_lshrrev_b32_e32 v226, 16, v212
	v_fmac_f16_e64 v230, v224, v210
	v_mul_f16_e64 v234, v85, v223
	v_mul_f16_e64 v223, v225, v223
	s_wait_dscnt 0x2
	v_lshrrev_b32_e32 v81, 16, v206
	v_mul_f16_e64 v224, v227, v226
	v_mul_f16_e64 v226, v86, v226
	v_fmac_f16_e64 v234, v225, v211
	s_wait_loadcnt 0x8
	v_lshrrev_b32_e32 v225, 16, v213
	v_fma_f16 v85, v85, v211, -v223
	v_fma_f16 v86, v86, v212, -v224
	s_wait_loadcnt 0x7
	v_lshrrev_b32_e32 v223, 16, v214
	v_fmac_f16_e64 v226, v227, v212
	v_mul_f16_e64 v224, v87, v225
	v_mul_f16_e64 v225, v228, v225
	v_lshrrev_b32_e32 v210, 16, v207
	v_mul_f16_e64 v227, v229, v223
	v_mul_f16_e64 v223, v88, v223
	v_fmac_f16_e64 v224, v228, v213
	s_wait_loadcnt 0x6
	v_lshrrev_b32_e32 v228, 16, v215
	v_fma_f16 v87, v87, v213, -v225
	s_wait_loadcnt 0x5
	v_lshrrev_b32_e32 v225, 16, v216
	v_fma_f16 v88, v88, v214, -v227
	v_fmac_f16_e64 v223, v229, v214
	v_mul_f16_e64 v227, v204, v228
	s_wait_loadcnt 0x4
	v_lshrrev_b32_e32 v214, 16, v217
	v_mul_f16_e64 v228, v232, v228
	v_mul_f16_e64 v229, v233, v225
	;; [unrolled: 1-line block ×3, first 2 shown]
	v_fmac_f16_e64 v227, v232, v215
	s_wait_loadcnt 0x3
	v_lshrrev_b32_e32 v232, 16, v218
	s_wait_dscnt 0x1
	v_lshrrev_b32_e32 v211, 16, v208
	v_lshrrev_b32_e32 v212, 16, v209
	s_wait_dscnt 0x0
	v_lshrrev_b32_e32 v213, 16, v222
	v_fma_f16 v204, v204, v215, -v228
	s_wait_loadcnt 0x2
	v_lshrrev_b32_e32 v215, 16, v219
	v_fma_f16 v205, v205, v216, -v229
	s_wait_loadcnt 0x1
	v_lshrrev_b32_e32 v228, 16, v220
	v_mul_f16_e64 v229, v206, v214
	v_fmac_f16_e64 v225, v233, v216
	s_wait_loadcnt 0x0
	v_lshrrev_b32_e32 v216, 16, v221
	v_mul_f16_e64 v214, v81, v214
	v_mul_f16_e64 v233, v210, v232
	;; [unrolled: 1-line block ×3, first 2 shown]
	v_fmac_f16_e64 v229, v81, v217
	v_mul_f16_e64 v81, v208, v215
	v_mul_f16_e64 v215, v211, v215
	v_fma_f16 v206, v206, v217, -v214
	v_mul_f16_e64 v214, v212, v228
	v_mul_f16_e64 v217, v209, v228
	;; [unrolled: 1-line block ×4, first 2 shown]
	v_fma_f16 v207, v207, v218, -v233
	v_fmac_f16_e64 v232, v210, v218
	v_fmac_f16_e64 v81, v211, v219
	v_fma_f16 v208, v208, v219, -v215
	v_fma_f16 v209, v209, v220, -v214
	v_fmac_f16_e64 v217, v212, v220
	v_fma_f16 v210, v222, v221, -v228
	v_fmac_f16_e64 v216, v213, v221
	v_pack_b32_f16 v77, v77, v231
	v_pack_b32_f16 v82, v82, v230
	;; [unrolled: 1-line block ×13, first 2 shown]
	ds_store_2addr_b32 v89, v77, v82 offset0:39 offset1:114
	ds_store_2addr_b32 v80, v85, v86 offset0:61 offset1:136
	;; [unrolled: 1-line block ×6, first 2 shown]
	ds_store_b32 v89, v209 offset:3756
.LBB0_13:
	s_wait_alu 0xfffe
	s_or_b32 exec_lo, exec_lo, s1
	global_wb scope:SCOPE_SE
	s_wait_dscnt 0x0
	s_barrier_signal -1
	s_barrier_wait -1
	global_inv scope:SCOPE_SE
	ds_load_2addr_b32 v[77:78], v89 offset1:75
	ds_load_2addr_b32 v[81:82], v89 offset0:150 offset1:225
	ds_load_2addr_b32 v[87:88], v79 offset0:44 offset1:119
	;; [unrolled: 1-line block ×5, first 2 shown]
	ds_load_b32 v204, v89 offset:3600
	s_and_saveexec_b32 s1, vcc_lo
	s_cbranch_execz .LBB0_15
; %bb.14:
	v_lshl_add_u32 v63, v42, 2, v116
	ds_load_b32 v192, v89 offset:156
	ds_load_2addr_b32 v[71:72], v63 offset0:114 offset1:189
	v_add_nc_u32_e32 v64, 0x400, v63
	v_add_nc_u32_e32 v65, 0x800, v63
	;; [unrolled: 1-line block ×4, first 2 shown]
	ds_load_2addr_b32 v[69:70], v64 offset0:8 offset1:83
	ds_load_2addr_b32 v[67:68], v64 offset0:158 offset1:233
	;; [unrolled: 1-line block ×5, first 2 shown]
	s_wait_dscnt 0x6
	v_lshrrev_b32_e32 v193, 16, v192
	s_wait_dscnt 0x5
	v_lshrrev_b32_e32 v194, 16, v71
	v_lshrrev_b32_e32 v66, 16, v72
	s_wait_dscnt 0x2
	v_lshrrev_b32_e32 v203, 16, v73
	s_wait_dscnt 0x1
	v_mov_b32_e32 v65, v76
	v_lshrrev_b32_e32 v198, 16, v69
	v_lshrrev_b32_e32 v197, 16, v70
	;; [unrolled: 1-line block ×7, first 2 shown]
	s_wait_dscnt 0x0
	v_lshrrev_b32_e32 v200, 16, v63
	v_lshrrev_b32_e32 v191, 16, v64
.LBB0_15:
	s_wait_alu 0xfffe
	s_or_b32 exec_lo, exec_lo, s1
	s_wait_dscnt 0x6
	v_pk_add_f16 v76, v77, v78
	s_wait_dscnt 0x2
	v_pk_add_f16 v205, v88, v85 neg_lo:[0,1] neg_hi:[0,1]
	s_wait_dscnt 0x0
	v_pk_add_f16 v211, v78, v204 neg_lo:[0,1] neg_hi:[0,1]
	v_pk_add_f16 v213, v204, v78
	v_lshrrev_b32_e32 v225, 16, v77
	v_pk_add_f16 v76, v76, v81
	global_wb scope:SCOPE_SE
	v_pk_mul_f16 v78, 0xb770, v211 op_sel_hi:[0,1]
	s_barrier_signal -1
	s_barrier_wait -1
	v_pk_add_f16 v76, v76, v82
	global_inv scope:SCOPE_SE
	v_pk_fma_f16 v214, 0x3b15, v213, v78 op_sel:[0,0,1] op_sel_hi:[0,1,0]
	v_pk_fma_f16 v215, 0x3b15, v213, v78 op_sel:[0,0,1] op_sel_hi:[0,1,0] neg_lo:[0,0,1] neg_hi:[0,0,1]
	v_pk_add_f16 v76, v76, v87
	s_delay_alu instid0(VALU_DEP_1) | instskip(SKIP_3) | instid1(VALU_DEP_4)
	v_pk_add_f16 v206, v76, v88
	v_pk_add_f16 v88, v85, v88
	v_pk_add_f16 v76, v87, v86 neg_lo:[0,1] neg_hi:[0,1]
	v_pk_add_f16 v87, v86, v87
	v_pk_add_f16 v206, v206, v79
	s_delay_alu instid0(VALU_DEP_1) | instskip(NEXT) | instid1(VALU_DEP_1)
	v_pk_add_f16 v206, v206, v80
	v_pk_add_f16 v85, v206, v85
	s_delay_alu instid0(VALU_DEP_1)
	v_pk_add_f16 v206, v85, v86
	v_pk_add_f16 v85, v81, v84 neg_lo:[0,1] neg_hi:[0,1]
	v_pk_add_f16 v86, v84, v81
	v_pk_add_f16 v81, v82, v83 neg_lo:[0,1] neg_hi:[0,1]
	v_pk_add_f16 v82, v83, v82
	v_pk_add_f16 v83, v206, v83
	v_pk_mul_f16 v78, 0xba95, v85 op_sel_hi:[0,1]
	v_pk_mul_f16 v206, 0xbb7b, v76 op_sel_hi:[0,1]
	v_lshrrev_b32_e32 v220, 16, v85
	v_lshrrev_b32_e32 v226, 16, v86
	v_pk_add_f16 v212, v83, v84
	v_pk_add_f16 v83, v79, v80 neg_lo:[0,1] neg_hi:[0,1]
	v_pk_add_f16 v79, v80, v79
	v_pk_fma_f16 v80, 0x388b, v86, v78 op_sel:[0,0,1] op_sel_hi:[0,1,0]
	v_pk_fma_f16 v207, 0x388b, v86, v78 op_sel:[0,0,1] op_sel_hi:[0,1,0] neg_lo:[0,0,1] neg_hi:[0,0,1]
	v_bfi_b32 v78, 0xffff, v214, v215
	v_pk_fma_f16 v209, 0xb5ac, v87, v206 op_sel:[0,0,1] op_sel_hi:[0,1,0] neg_lo:[0,0,1] neg_hi:[0,0,1]
	v_mul_f16_e64 v221, 0xbb7b, v220
	v_mul_f16_e64 v227, 0xb5ac, v226
	v_bfi_b32 v84, 0xffff, v80, v207
	v_pk_add_f16 v78, v77, v78
	v_mul_f16_e64 v230, 0xb3a8, v220
	v_fma_f16 v222, 0xb5ac, v86, v221
	v_fma_f16 v228, 0x3b7b, v85, v227
	v_mul_f16_e64 v233, 0xbbc4, v226
	v_pk_add_f16 v78, v84, v78
	v_pk_mul_f16 v84, 0xbbf1, v81 op_sel_hi:[0,1]
	v_fma_f16 v231, 0xbbc4, v86, v230
	v_pk_add_f16 v204, v212, v204
	v_fma_f16 v234, 0x33a8, v85, v233
	v_mul_f16_e64 v212, 0x394e, v220
	v_pk_fma_f16 v208, 0x2fb7, v82, v84 op_sel:[0,0,1] op_sel_hi:[0,1,0]
	v_pk_fma_f16 v210, 0x2fb7, v82, v84 op_sel:[0,0,1] op_sel_hi:[0,1,0] neg_lo:[0,0,1] neg_hi:[0,0,1]
	v_fmac_f16_e64 v227, 0xbb7b, v85
	v_fmac_f16_e64 v233, 0xb3a8, v85
	v_bfi_b32 v80, 0xffff, v207, v80
	s_delay_alu instid0(VALU_DEP_4) | instskip(NEXT) | instid1(VALU_DEP_1)
	v_bfi_b32 v84, 0xffff, v208, v210
	v_pk_add_f16 v78, v84, v78
	v_pk_fma_f16 v84, 0xb5ac, v87, v206 op_sel:[0,0,1] op_sel_hi:[0,1,0]
	s_delay_alu instid0(VALU_DEP_1) | instskip(NEXT) | instid1(VALU_DEP_1)
	v_bfi_b32 v206, 0xffff, v84, v209
	v_pk_add_f16 v216, v206, v78
	v_pk_mul_f16 v206, 0xb94e, v205 op_sel_hi:[0,1]
	s_delay_alu instid0(VALU_DEP_1) | instskip(SKIP_1) | instid1(VALU_DEP_1)
	v_pk_fma_f16 v78, 0xb9fd, v88, v206 op_sel:[0,0,1] op_sel_hi:[0,1,0]
	v_pk_fma_f16 v206, 0xb9fd, v88, v206 op_sel:[0,0,1] op_sel_hi:[0,1,0] neg_lo:[0,0,1] neg_hi:[0,0,1]
	v_bfi_b32 v217, 0xffff, v78, v206
	s_delay_alu instid0(VALU_DEP_1) | instskip(SKIP_1) | instid1(VALU_DEP_1)
	v_pk_add_f16 v216, v217, v216
	v_lshrrev_b32_e32 v217, 16, v211
	v_mul_f16_e64 v218, 0xba95, v217
	s_delay_alu instid0(VALU_DEP_1) | instskip(NEXT) | instid1(VALU_DEP_1)
	v_fma_f16 v219, 0x388b, v213, v218
	v_add_f16_e64 v219, v77, v219
	s_delay_alu instid0(VALU_DEP_1) | instskip(SKIP_1) | instid1(VALU_DEP_1)
	v_add_f16_e64 v219, v222, v219
	v_lshrrev_b32_e32 v222, 16, v213
	v_mul_f16_e64 v223, 0x388b, v222
	s_delay_alu instid0(VALU_DEP_1) | instskip(SKIP_1) | instid1(VALU_DEP_2)
	v_fma_f16 v224, 0x3a95, v211, v223
	v_fmac_f16_e64 v223, 0xba95, v211
	v_add_f16_e64 v224, v225, v224
	s_delay_alu instid0(VALU_DEP_1) | instskip(SKIP_1) | instid1(VALU_DEP_1)
	v_add_f16_e64 v224, v228, v224
	v_mul_f16_e64 v228, 0xbbf1, v217
	v_fma_f16 v229, 0x2fb7, v213, v228
	s_delay_alu instid0(VALU_DEP_1) | instskip(NEXT) | instid1(VALU_DEP_1)
	v_add_f16_e64 v229, v77, v229
	v_add_f16_e64 v229, v231, v229
	v_mul_f16_e64 v231, 0x2fb7, v222
	s_delay_alu instid0(VALU_DEP_1) | instskip(SKIP_1) | instid1(VALU_DEP_2)
	v_fma_f16 v232, 0x3bf1, v211, v231
	v_fmac_f16_e64 v231, 0xbbf1, v211
	v_add_f16_e64 v232, v225, v232
	s_delay_alu instid0(VALU_DEP_1) | instskip(SKIP_1) | instid1(VALU_DEP_1)
	v_add_f16_e64 v232, v234, v232
	v_lshrrev_b32_e32 v234, 16, v81
	v_mul_f16_e64 v235, 0xb3a8, v234
	s_delay_alu instid0(VALU_DEP_1) | instskip(NEXT) | instid1(VALU_DEP_1)
	v_fma_f16 v236, 0xbbc4, v82, v235
	v_add_f16_e64 v219, v236, v219
	v_lshrrev_b32_e32 v236, 16, v82
	s_delay_alu instid0(VALU_DEP_1) | instskip(NEXT) | instid1(VALU_DEP_1)
	v_mul_f16_e64 v237, 0xbbc4, v236
	v_fma_f16 v238, 0x33a8, v81, v237
	v_fmac_f16_e64 v237, 0xb3a8, v81
	s_delay_alu instid0(VALU_DEP_2) | instskip(SKIP_1) | instid1(VALU_DEP_1)
	v_add_f16_e64 v224, v238, v224
	v_mul_f16_e64 v238, 0x3b7b, v234
	v_fma_f16 v239, 0xb5ac, v82, v238
	s_delay_alu instid0(VALU_DEP_1) | instskip(SKIP_1) | instid1(VALU_DEP_1)
	v_add_f16_e64 v229, v239, v229
	v_mul_f16_e64 v239, 0xb5ac, v236
	v_fma_f16 v240, 0xbb7b, v81, v239
	v_fmac_f16_e64 v239, 0x3b7b, v81
	s_delay_alu instid0(VALU_DEP_2) | instskip(SKIP_1) | instid1(VALU_DEP_1)
	v_add_f16_e64 v232, v240, v232
	v_lshrrev_b32_e32 v240, 16, v76
	v_mul_f16_e64 v241, 0x394e, v240
	s_delay_alu instid0(VALU_DEP_1) | instskip(NEXT) | instid1(VALU_DEP_1)
	v_fma_f16 v242, 0xb9fd, v87, v241
	v_add_f16_e64 v219, v242, v219
	v_lshrrev_b32_e32 v242, 16, v87
	s_delay_alu instid0(VALU_DEP_1) | instskip(NEXT) | instid1(VALU_DEP_1)
	v_mul_f16_e64 v243, 0xb9fd, v242
	v_fma_f16 v244, 0xb94e, v76, v243
	v_fmac_f16_e64 v243, 0x394e, v76
	s_delay_alu instid0(VALU_DEP_2) | instskip(SKIP_1) | instid1(VALU_DEP_1)
	v_add_f16_e64 v224, v244, v224
	v_mul_f16_e64 v244, 0x3770, v240
	v_fma_f16 v245, 0x3b15, v87, v244
	s_delay_alu instid0(VALU_DEP_1) | instskip(SKIP_1) | instid1(VALU_DEP_1)
	v_add_f16_e64 v229, v245, v229
	v_mul_f16_e64 v245, 0x3b15, v242
	v_fma_f16 v246, 0xb770, v76, v245
	v_fmac_f16_e64 v245, 0x3770, v76
	s_delay_alu instid0(VALU_DEP_2) | instskip(SKIP_1) | instid1(VALU_DEP_1)
	;; [unrolled: 21-line block ×3, first 2 shown]
	v_add_f16_e64 v232, v252, v232
	v_lshrrev_b32_e32 v252, 16, v83
	v_mul_f16_e64 v253, 0x3770, v252
	s_delay_alu instid0(VALU_DEP_1) | instskip(NEXT) | instid1(VALU_DEP_1)
	v_fma_f16 v254, 0x3b15, v79, v253
	v_add_f16_e64 v219, v254, v219
	v_mul_f16_e64 v254, 0xb94e, v252
	s_delay_alu instid0(VALU_DEP_1) | instskip(NEXT) | instid1(VALU_DEP_1)
	v_fma_f16 v255, 0xb9fd, v79, v254
	v_add_f16_e64 v229, v255, v229
	v_lshrrev_b32_e32 v255, 16, v79
	s_delay_alu instid0(VALU_DEP_1) | instskip(NEXT) | instid1(VALU_DEP_1)
	v_mul_f16_e64 v117, 0xb9fd, v255
	v_fmamk_f16 v43, v83, 0x394e, v117
	v_fmac_f16_e32 v117, 0xb94e, v83
	s_delay_alu instid0(VALU_DEP_2) | instskip(SKIP_1) | instid1(VALU_DEP_2)
	v_add_f16_e64 v43, v43, v232
	v_mul_f16_e64 v232, 0x3b15, v255
	v_pack_b32_f16 v43, v229, v43
	s_delay_alu instid0(VALU_DEP_2) | instskip(SKIP_2) | instid1(VALU_DEP_3)
	v_fma_f16 v92, 0xb770, v83, v232
	v_mul_f16_e64 v229, 0xb9fd, v226
	v_fmac_f16_e64 v232, 0x3770, v83
	v_add_f16_e64 v92, v92, v224
	v_pk_mul_f16 v224, 0xb3a8, v83 op_sel_hi:[0,1]
	s_delay_alu instid0(VALU_DEP_4) | instskip(SKIP_1) | instid1(VALU_DEP_4)
	v_fma_f16 v97, 0xb94e, v85, v229
	v_fmac_f16_e64 v229, 0x394e, v85
	v_pack_b32_f16 v92, v219, v92
	s_delay_alu instid0(VALU_DEP_4)
	v_pk_fma_f16 v93, 0xbbc4, v79, v224 op_sel:[0,0,1] op_sel_hi:[0,1,0]
	v_pk_fma_f16 v224, 0xbbc4, v79, v224 op_sel:[0,0,1] op_sel_hi:[0,1,0] neg_lo:[0,0,1] neg_hi:[0,0,1]
	ds_store_2addr_b32 v118, v92, v43 offset0:2 offset1:3
	v_fma_f16 v92, v213, 0x388b, -v218
	v_bfi_b32 v95, 0xffff, v93, v224
	v_bfi_b32 v43, 0xffff, v215, v214
	s_delay_alu instid0(VALU_DEP_3) | instskip(NEXT) | instid1(VALU_DEP_3)
	v_add_f16_e32 v92, v77, v92
	v_pk_add_f16 v95, v95, v216
	v_fma_f16 v216, 0xb9fd, v86, v212
	s_delay_alu instid0(VALU_DEP_4)
	v_pk_add_f16 v43, v77, v43
	ds_store_2addr_b32 v118, v204, v95 offset1:1
	v_mul_f16_e64 v95, 0xbb7b, v217
	v_mul_f16_e64 v217, 0xb94e, v217
	v_pk_add_f16 v43, v80, v43
	v_bfi_b32 v80, 0xffff, v210, v208
	v_sub_f16_e64 v208, v194, v191
	v_fma_f16 v204, 0xb5ac, v213, v95
	v_fma_f16 v95, v213, 0xb5ac, -v95
	s_delay_alu instid0(VALU_DEP_4) | instskip(SKIP_1) | instid1(VALU_DEP_4)
	v_pk_add_f16 v43, v80, v43
	v_bfi_b32 v80, 0xffff, v209, v84
	v_add_f16_e64 v204, v77, v204
	s_delay_alu instid0(VALU_DEP_4) | instskip(SKIP_1) | instid1(VALU_DEP_4)
	v_add_f16_e32 v95, v77, v95
	v_fma_f16 v84, v79, 0x3b15, -v253
	v_pk_add_f16 v43, v80, v43
	s_delay_alu instid0(VALU_DEP_4) | instskip(SKIP_3) | instid1(VALU_DEP_3)
	v_add_f16_e64 v204, v216, v204
	v_mul_f16_e64 v216, 0xb5ac, v222
	v_bfi_b32 v80, 0xffff, v206, v78
	v_add_f16_e32 v78, v64, v71
	v_fma_f16 v219, 0x3b7b, v211, v216
	v_fmac_f16_e64 v216, 0xbb7b, v211
	s_delay_alu instid0(VALU_DEP_4) | instskip(SKIP_3) | instid1(VALU_DEP_3)
	v_pk_add_f16 v43, v80, v43
	v_bfi_b32 v80, 0xffff, v224, v93
	v_add_f16_e64 v224, v199, v198
	v_add_f16_e64 v219, v225, v219
	v_pk_add_f16 v43, v80, v43
	s_delay_alu instid0(VALU_DEP_2) | instskip(SKIP_2) | instid1(VALU_DEP_2)
	v_add_f16_e64 v97, v97, v219
	v_mul_f16_e64 v219, 0x3bf1, v220
	v_fma_f16 v220, 0xb9fd, v213, v217
	v_fma_f16 v99, 0x2fb7, v86, v219
	s_delay_alu instid0(VALU_DEP_2) | instskip(NEXT) | instid1(VALU_DEP_1)
	v_add_f16_e64 v220, v77, v220
	v_add_f16_e64 v99, v99, v220
	v_mul_f16_e64 v220, 0xb9fd, v222
	v_mul_f16_e64 v222, 0x2fb7, v226
	s_delay_alu instid0(VALU_DEP_2) | instskip(NEXT) | instid1(VALU_DEP_2)
	v_fma_f16 v226, 0x394e, v211, v220
	v_fma_f16 v102, 0xbbf1, v85, v222
	v_fmac_f16_e64 v220, 0xb94e, v211
	v_fmac_f16_e64 v222, 0x3bf1, v85
	s_delay_alu instid0(VALU_DEP_4) | instskip(NEXT) | instid1(VALU_DEP_1)
	v_add_f16_e64 v226, v225, v226
	v_add_f16_e64 v102, v102, v226
	v_mul_f16_e64 v226, 0x3770, v234
	s_delay_alu instid0(VALU_DEP_1) | instskip(NEXT) | instid1(VALU_DEP_1)
	v_fma_f16 v104, 0x3b15, v82, v226
	v_add_f16_e64 v104, v104, v204
	v_mul_f16_e64 v204, 0x3b15, v236
	s_delay_alu instid0(VALU_DEP_1) | instskip(SKIP_1) | instid1(VALU_DEP_2)
	v_fma_f16 v106, 0xb770, v81, v204
	v_fmac_f16_e64 v204, 0x3770, v81
	v_add_f16_e32 v97, v106, v97
	v_mul_f16_e64 v106, 0xba95, v234
	s_delay_alu instid0(VALU_DEP_1) | instskip(NEXT) | instid1(VALU_DEP_1)
	v_fma_f16 v234, 0x388b, v82, v106
	v_add_f16_e64 v99, v234, v99
	v_mul_f16_e64 v234, 0x388b, v236
	s_delay_alu instid0(VALU_DEP_1) | instskip(SKIP_1) | instid1(VALU_DEP_2)
	v_fma_f16 v236, 0x3a95, v81, v234
	v_fmac_f16_e64 v234, 0xba95, v81
	v_add_f16_e64 v102, v236, v102
	v_mul_f16_e64 v236, 0xbbf1, v240
	s_delay_alu instid0(VALU_DEP_1) | instskip(NEXT) | instid1(VALU_DEP_1)
	v_fma_f16 v108, 0x2fb7, v87, v236
	v_add_f16_e32 v104, v108, v104
	v_mul_f16_e64 v108, 0x2fb7, v242
	s_delay_alu instid0(VALU_DEP_1) | instskip(SKIP_1) | instid1(VALU_DEP_2)
	v_fmamk_f16 v110, v76, 0x3bf1, v108
	v_fmac_f16_e32 v108, 0xbbf1, v76
	v_add_f16_e32 v97, v110, v97
	v_mul_f16_e64 v110, 0x33a8, v240
	s_delay_alu instid0(VALU_DEP_1) | instskip(NEXT) | instid1(VALU_DEP_1)
	v_fma_f16 v240, 0xbbc4, v87, v110
	v_add_f16_e64 v99, v240, v99
	v_mul_f16_e64 v240, 0xbbc4, v242
	s_delay_alu instid0(VALU_DEP_1) | instskip(SKIP_1) | instid1(VALU_DEP_2)
	v_fma_f16 v242, 0xb3a8, v76, v240
	v_fmac_f16_e64 v240, 0x33a8, v76
	v_add_f16_e64 v102, v242, v102
	v_mul_f16_e64 v242, 0x33a8, v246
	s_delay_alu instid0(VALU_DEP_1) | instskip(NEXT) | instid1(VALU_DEP_1)
	v_fma_f16 v112, 0xbbc4, v88, v242
	v_add_f16_e32 v104, v112, v104
	v_mul_f16_e64 v112, 0xbbc4, v248
	s_delay_alu instid0(VALU_DEP_1) | instskip(SKIP_1) | instid1(VALU_DEP_2)
	v_fma_f16 v114, 0xb3a8, v205, v112
	v_fmac_f16_e64 v112, 0x33a8, v205
	v_add_f16_e32 v97, v114, v97
	v_mul_f16_e64 v114, 0x3770, v246
	s_delay_alu instid0(VALU_DEP_1) | instskip(NEXT) | instid1(VALU_DEP_1)
	v_fma_f16 v246, 0x3b15, v88, v114
	v_add_f16_e64 v99, v246, v99
	v_mul_f16_e64 v246, 0x3b15, v248
	s_delay_alu instid0(VALU_DEP_1) | instskip(SKIP_1) | instid1(VALU_DEP_2)
	v_fma_f16 v248, 0xb770, v205, v246
	v_fmac_f16_e64 v246, 0x3770, v205
	v_add_f16_e64 v102, v248, v102
	v_mul_f16_e64 v248, 0x3a95, v252
	s_delay_alu instid0(VALU_DEP_1) | instskip(NEXT) | instid1(VALU_DEP_1)
	v_fma_f16 v115, 0x388b, v79, v248
	v_add_f16_e32 v104, v115, v104
	v_mul_f16_e64 v115, 0xbb7b, v252
	s_delay_alu instid0(VALU_DEP_1) | instskip(NEXT) | instid1(VALU_DEP_1)
	v_fma_f16 v252, 0xb5ac, v79, v115
	v_add_f16_e64 v99, v252, v99
	v_mul_f16_e64 v252, 0xb5ac, v255
	s_delay_alu instid0(VALU_DEP_1) | instskip(SKIP_1) | instid1(VALU_DEP_2)
	v_fma_f16 v150, 0x3b7b, v83, v252
	v_fmac_f16_e64 v252, 0xbb7b, v83
	v_add_f16_e64 v102, v150, v102
	v_mul_f16_e64 v150, 0x388b, v255
	s_delay_alu instid0(VALU_DEP_2) | instskip(NEXT) | instid1(VALU_DEP_2)
	v_pack_b32_f16 v99, v99, v102
	v_fma_f16 v255, 0xba95, v83, v150
	v_fma_f16 v102, v213, 0x2fb7, -v228
	v_fmac_f16_e64 v150, 0x3a95, v83
	s_delay_alu instid0(VALU_DEP_3) | instskip(NEXT) | instid1(VALU_DEP_3)
	v_add_f16_e64 v97, v255, v97
	v_add_f16_e32 v102, v77, v102
	s_delay_alu instid0(VALU_DEP_2) | instskip(SKIP_2) | instid1(VALU_DEP_2)
	v_pack_b32_f16 v97, v104, v97
	v_fma_f16 v104, v213, 0xb9fd, -v217
	v_pk_mul_f16 v213, 0xbbc4, v213 op_sel_hi:[0,1]
	v_add_f16_e32 v104, v77, v104
	s_delay_alu instid0(VALU_DEP_2) | instskip(SKIP_2) | instid1(VALU_DEP_3)
	v_pk_fma_f16 v214, 0xb3a8, v211, v213 op_sel:[0,0,1] op_sel_hi:[0,1,0]
	v_pk_fma_f16 v213, 0xb3a8, v211, v213 op_sel:[0,0,1] op_sel_hi:[0,1,0] neg_lo:[0,1,0] neg_hi:[0,1,0]
	v_sub_f16_e64 v211, v196, v203
	v_alignbit_b32 v215, s0, v214, 16
	s_delay_alu instid0(VALU_DEP_3) | instskip(NEXT) | instid1(VALU_DEP_3)
	v_pk_add_f16 v213, v77, v213 op_sel:[1,0] op_sel_hi:[0,1]
	v_mul_f16_e64 v210, 0xb3a8, v211
	s_delay_alu instid0(VALU_DEP_3) | instskip(SKIP_1) | instid1(VALU_DEP_1)
	v_pk_add_f16 v215, v77, v215
	v_alignbit_b32 v77, s0, v77, 16
	v_pk_add_f16 v77, v77, v214
	v_pk_mul_f16 v214, 0x3b15, v86 op_sel_hi:[0,1]
	s_delay_alu instid0(VALU_DEP_1) | instskip(SKIP_1) | instid1(VALU_DEP_2)
	v_pk_fma_f16 v217, 0x3770, v85, v214 op_sel:[0,0,1] op_sel_hi:[0,1,0]
	v_pk_fma_f16 v214, 0x3770, v85, v214 op_sel:[0,0,1] op_sel_hi:[0,1,0] neg_lo:[0,1,0] neg_hi:[0,1,0]
	v_alignbit_b32 v218, s0, v217, 16
	s_delay_alu instid0(VALU_DEP_2) | instskip(SKIP_2) | instid1(VALU_DEP_4)
	v_pk_add_f16 v213, v214, v213
	v_pk_mul_f16 v214, 0xb9fd, v82 op_sel_hi:[0,1]
	v_pk_add_f16 v77, v217, v77
	v_pk_add_f16 v215, v218, v215
	s_delay_alu instid0(VALU_DEP_3) | instskip(SKIP_1) | instid1(VALU_DEP_2)
	v_pk_fma_f16 v217, 0xb94e, v81, v214 op_sel:[0,0,1] op_sel_hi:[0,1,0]
	v_pk_fma_f16 v214, 0xb94e, v81, v214 op_sel:[0,0,1] op_sel_hi:[0,1,0] neg_lo:[0,1,0] neg_hi:[0,1,0]
	v_alignbit_b32 v218, s0, v217, 16
	s_delay_alu instid0(VALU_DEP_2) | instskip(SKIP_2) | instid1(VALU_DEP_4)
	v_pk_add_f16 v213, v214, v213
	v_pk_mul_f16 v214, 0x388b, v87 op_sel_hi:[0,1]
	v_pk_add_f16 v77, v217, v77
	v_pk_add_f16 v215, v218, v215
	s_delay_alu instid0(VALU_DEP_3) | instskip(SKIP_1) | instid1(VALU_DEP_2)
	v_pk_fma_f16 v217, 0x3a95, v76, v214 op_sel:[0,0,1] op_sel_hi:[0,1,0]
	v_pk_fma_f16 v214, 0x3a95, v76, v214 op_sel:[0,0,1] op_sel_hi:[0,1,0] neg_lo:[0,1,0] neg_hi:[0,1,0]
	v_alignbit_b32 v218, s0, v217, 16
	s_delay_alu instid0(VALU_DEP_2) | instskip(SKIP_2) | instid1(VALU_DEP_4)
	v_pk_add_f16 v213, v214, v213
	v_pk_mul_f16 v214, 0xb5ac, v88 op_sel_hi:[0,1]
	v_pk_add_f16 v77, v217, v77
	v_pk_add_f16 v215, v218, v215
	s_delay_alu instid0(VALU_DEP_3) | instskip(SKIP_2) | instid1(VALU_DEP_3)
	v_pk_fma_f16 v217, 0xbb7b, v205, v214 op_sel:[0,0,1] op_sel_hi:[0,1,0]
	v_pk_fma_f16 v214, 0xbb7b, v205, v214 op_sel:[0,0,1] op_sel_hi:[0,1,0] neg_lo:[0,1,0] neg_hi:[0,1,0]
	v_mul_f16_e64 v205, 0xb770, v208
	v_alignbit_b32 v218, s0, v217, 16
	s_delay_alu instid0(VALU_DEP_3) | instskip(SKIP_2) | instid1(VALU_DEP_4)
	v_pk_add_f16 v213, v214, v213
	v_pk_mul_f16 v214, 0x2fb7, v79 op_sel_hi:[0,1]
	v_pk_add_f16 v77, v217, v77
	v_pk_add_f16 v215, v218, v215
	s_delay_alu instid0(VALU_DEP_3) | instskip(SKIP_1) | instid1(VALU_DEP_2)
	v_pk_fma_f16 v217, 0x3bf1, v83, v214 op_sel:[0,0,1] op_sel_hi:[0,1,0] neg_lo:[0,1,0] neg_hi:[0,1,0]
	v_pk_fma_f16 v214, 0x3bf1, v83, v214 op_sel:[0,0,1] op_sel_hi:[0,1,0]
	v_pk_add_f16 v213, v217, v213
	s_delay_alu instid0(VALU_DEP_2) | instskip(SKIP_1) | instid1(VALU_DEP_2)
	v_pk_add_f16 v77, v214, v77
	v_alignbit_b32 v214, s0, v214, 16
	v_alignbit_b32 v77, v77, v213, 16
	s_delay_alu instid0(VALU_DEP_2) | instskip(SKIP_1) | instid1(VALU_DEP_2)
	v_pk_add_f16 v214, v214, v215
	v_sub_f16_e64 v215, v195, v201
	v_pack_b32_f16 v213, v214, v213
	ds_store_2addr_b32 v118, v97, v99 offset0:4 offset1:5
	ds_store_2addr_b32 v118, v213, v77 offset0:6 offset1:7
	v_fma_f16 v77, v86, 0xb9fd, -v212
	v_fma_f16 v97, v86, 0x2fb7, -v219
	v_add_f16_e64 v99, v225, v220
	v_sub_f16_e64 v213, v66, v200
	v_sub_f16_e64 v220, v197, v202
	v_add_f16_e32 v77, v77, v95
	v_add_f16_e32 v97, v97, v104
	v_fma_f16 v104, v82, 0x3b15, -v226
	v_add_f16_e64 v95, v225, v216
	v_add_f16_e64 v99, v222, v99
	v_mul_f16_e64 v206, 0xba95, v213
	v_add_f16_e64 v222, v191, v194
	v_add_f16_e32 v77, v104, v77
	v_fma_f16 v104, v82, 0x388b, -v106
	v_add_f16_e64 v95, v229, v95
	v_add_f16_e64 v99, v234, v99
	;; [unrolled: 1-line block ×3, first 2 shown]
	v_mul_f16_e64 v212, 0x3b15, v222
	v_add_f16_e32 v97, v104, v97
	v_fma_f16 v104, v87, 0x2fb7, -v236
	v_add_f16_e64 v95, v204, v95
	v_add_f16_e64 v99, v240, v99
	v_sub_f16_e64 v204, v71, v64
	ds_store_b32 v118, v43 offset:48
	v_add_f16_e32 v77, v104, v77
	v_fma_f16 v104, v87, 0xbbc4, -v110
	v_add_f16_e32 v95, v108, v95
	v_add_f16_e64 v99, v246, v99
	v_fma_f16 v108, v86, 0xb5ac, -v221
	v_fma_f16 v86, v86, 0xbbc4, -v230
	v_add_f16_e32 v97, v104, v97
	v_fma_f16 v104, v88, 0xbbc4, -v242
	v_add_f16_e32 v95, v112, v95
	v_add_f16_e64 v85, v252, v99
	v_add_f16_e32 v92, v108, v92
	v_add_f16_e32 v86, v86, v102
	;; [unrolled: 1-line block ×3, first 2 shown]
	v_fma_f16 v104, v88, 0x3b15, -v114
	v_add_f16_e64 v95, v150, v95
	v_add_f16_e64 v102, v233, v106
	v_sub_f16_e64 v221, v198, v199
	v_mul_f16_e64 v216, 0x2fb7, v224
	v_add_f16_e32 v97, v104, v97
	v_fma_f16 v104, v79, 0x388b, -v248
	v_mul_f16_e64 v207, 0xbb7b, v220
	v_mul_f16_e64 v209, 0xb94e, v215
	v_add_f16_e64 v226, v201, v195
	s_delay_alu instid0(VALU_DEP_4) | instskip(SKIP_2) | instid1(VALU_DEP_4)
	v_add_f16_e32 v77, v104, v77
	v_fma_f16 v104, v79, 0xb5ac, -v115
	v_fma_f16 v79, v79, 0xb9fd, -v254
	v_mul_f16_e64 v219, 0xb9fd, v226
	s_delay_alu instid0(VALU_DEP_4) | instskip(NEXT) | instid1(VALU_DEP_4)
	v_pack_b32_f16 v77, v77, v95
	v_add_f16_e32 v97, v104, v97
	v_add_f16_e64 v104, v225, v223
	v_fma_f16 v95, v87, 0xb9fd, -v241
	v_fma_f16 v87, v87, 0x3b15, -v244
	v_add_f16_e64 v223, v200, v66
	v_pack_b32_f16 v76, v97, v85
	v_add_f16_e64 v99, v227, v104
	v_fma_f16 v104, v82, 0xbbc4, -v235
	v_fma_f16 v82, v82, 0xb5ac, -v238
	v_mul_f16_e64 v214, 0x388b, v223
	v_add_f16_e64 v225, v202, v197
	v_add_f16_e64 v227, v203, v196
	v_add_f16_e32 v81, v104, v92
	v_add_f16_e64 v92, v237, v99
	v_add_f16_e32 v82, v82, v86
	v_add_f16_e64 v86, v239, v102
	v_mul_f16_e64 v218, 0xb5ac, v225
	v_add_f16_e32 v81, v95, v81
	v_add_f16_e64 v85, v243, v92
	v_add_f16_e32 v82, v87, v82
	v_add_f16_e64 v86, v245, v86
	v_fma_f16 v87, v88, 0x2fb7, -v247
	v_fma_f16 v88, v88, 0x388b, -v250
	v_add_f16_e64 v85, v249, v85
	v_mul_f16_e64 v217, 0xbbc4, v227
	v_add_f16_e64 v86, v251, v86
	v_add_f16_e32 v81, v87, v81
	v_add_f16_e32 v82, v88, v82
	v_add_f16_e64 v83, v232, v85
	v_sub_f16_e32 v85, v72, v63
	v_sub_f16_e32 v88, v70, v75
	v_add_f16_e32 v81, v84, v81
	v_add_f16_e32 v79, v79, v82
	;; [unrolled: 1-line block ×3, first 2 shown]
	v_sub_f16_e32 v86, v69, v65
	v_sub_f16_e32 v84, v67, v74
	v_pack_b32_f16 v81, v81, v83
	v_fma_f16 v83, v78, 0x3b15, -v205
	v_pack_b32_f16 v82, v79, v82
	v_add_f16_e32 v79, v63, v72
	ds_store_2addr_b32 v118, v76, v77 offset0:8 offset1:9
	v_fma_f16 v77, 0xba95, v85, v214
	v_add_f16_e64 v80, v192, v83
	ds_store_2addr_b32 v118, v82, v81 offset0:10 offset1:11
	v_fma_f16 v76, v79, 0x388b, -v206
	v_add_f16_e32 v81, v65, v69
	v_mul_f16_e64 v118, 0xbbf1, v221
	v_add_f16_e32 v82, v75, v70
	v_add_f16_e32 v83, v73, v68
	;; [unrolled: 1-line block ×3, first 2 shown]
	v_fma_f16 v76, 0xb770, v204, v212
	v_add_f16_e32 v80, v74, v67
	v_sub_f16_e32 v87, v68, v73
	s_delay_alu instid0(VALU_DEP_3) | instskip(NEXT) | instid1(VALU_DEP_1)
	v_add_f16_e64 v76, v193, v76
	v_add_f16_e32 v76, v77, v76
	v_fma_f16 v77, v81, 0x2fb7, -v118
	s_delay_alu instid0(VALU_DEP_1) | instskip(SKIP_1) | instid1(VALU_DEP_1)
	v_add_f16_e32 v43, v77, v43
	v_fma_f16 v77, 0xbbf1, v86, v216
	v_add_f16_e32 v76, v77, v76
	v_fma_f16 v77, v82, 0xb5ac, -v207
	s_delay_alu instid0(VALU_DEP_1) | instskip(SKIP_1) | instid1(VALU_DEP_1)
	v_add_f16_e32 v43, v77, v43
	v_fma_f16 v77, 0xbb7b, v88, v218
	;; [unrolled: 5-line block ×4, first 2 shown]
	v_add_f16_e32 v77, v43, v77
	s_and_saveexec_b32 s1, vcc_lo
	s_cbranch_execz .LBB0_17
; %bb.16:
	v_add_f16_e64 v43, v71, v192
	v_mul_f16_e64 v110, 0x3bf1, v213
	v_mul_f16_e64 v230, 0xb9fd, v223
	;; [unrolled: 1-line block ×4, first 2 shown]
	v_add_f16_e32 v43, v72, v43
	v_mul_f16_e64 v72, 0x2fb7, v223
	v_fmamk_f16 v112, v79, 0x2fb7, v110
	v_fma_f16 v231, 0xb94e, v85, v230
	v_fma_f16 v237, 0xb9fd, v79, v236
	v_add_f16_e32 v43, v69, v43
	v_mul_f16_e64 v69, 0x3770, v213
	v_fma_f16 v245, 0x33a8, v85, v244
	v_mul_f16_e64 v250, 0xb3a8, v213
	v_mul_f16_e64 v213, 0xbb7b, v213
	v_add_f16_e32 v43, v70, v43
	v_fmamk_f16 v70, v79, 0x3b15, v69
	v_fma_f16 v69, v79, 0x3b15, -v69
	v_fma_f16 v251, 0xbbc4, v79, v250
	v_fma_f16 v120, 0xb5ac, v79, v213
	v_add_f16_e32 v43, v67, v43
	v_add_f16_e64 v194, v194, v193
	v_fmac_f16_e64 v230, 0x394e, v85
	v_fmac_f16_e64 v244, 0xb3a8, v85
	s_delay_alu instid0(VALU_DEP_4) | instskip(NEXT) | instid1(VALU_DEP_4)
	v_add_f16_e32 v43, v68, v43
	v_add_f16_e64 v66, v66, v194
	v_mul_f16_e64 v194, 0x3b15, v78
	s_delay_alu instid0(VALU_DEP_3)
	v_add_f16_e32 v43, v73, v43
	v_fmamk_f16 v73, v85, 0xbbf1, v72
	v_fmac_f16_e32 v72, 0x3bf1, v85
	v_add_f16_e64 v66, v198, v66
	v_add_f16_e64 v194, v194, v205
	v_add_f16_e32 v43, v74, v43
	v_mul_f16_e64 v198, 0xbb7b, v88
	s_delay_alu instid0(VALU_DEP_4) | instskip(NEXT) | instid1(VALU_DEP_4)
	v_add_f16_e64 v66, v197, v66
	v_add_f16_e64 v194, v192, v194
	s_delay_alu instid0(VALU_DEP_4) | instskip(NEXT) | instid1(VALU_DEP_4)
	v_add_f16_e32 v43, v75, v43
	v_sub_f16_e64 v198, v218, v198
	s_delay_alu instid0(VALU_DEP_4) | instskip(SKIP_1) | instid1(VALU_DEP_4)
	v_add_f16_e64 v66, v195, v66
	v_mul_f16_e64 v195, 0x2fb7, v81
	v_add_f16_e32 v43, v65, v43
	v_mul_f16_e64 v65, 0x3b15, v223
	v_mul_f16_e64 v223, 0xb5ac, v223
	v_add_f16_e64 v66, v196, v66
	v_add_f16_e64 v118, v195, v118
	v_add_f16_e32 v43, v63, v43
	v_mul_f16_e64 v63, 0xbbc4, v222
	v_fmamk_f16 v67, v85, 0xb770, v65
	v_fma_f16 v119, 0x3b7b, v85, v223
	v_fmac_f16_e32 v65, 0x3770, v85
	v_add_f16_e32 v43, v64, v43
	v_fma_f16 v64, 0x33a8, v204, v63
	v_fmac_f16_e64 v63, 0xb3a8, v204
	v_fmac_f16_e64 v223, 0xbb7b, v85
	v_mul_f16_e64 v195, 0x3bf1, v215
	v_add_f16_e64 v66, v203, v66
	v_add_f16_e64 v64, v193, v64
	;; [unrolled: 1-line block ×3, first 2 shown]
	v_mul_f16_e64 v196, 0xb3a8, v87
	s_delay_alu instid0(VALU_DEP_4) | instskip(NEXT) | instid1(VALU_DEP_4)
	v_add_f16_e64 v66, v201, v66
	v_add_f16_e32 v64, v67, v64
	v_mul_f16_e64 v67, 0xb3a8, v208
	v_add_f16_e32 v63, v65, v63
	v_sub_f16_e64 v196, v217, v196
	v_add_f16_e64 v66, v202, v66
	s_delay_alu instid0(VALU_DEP_4) | instskip(SKIP_1) | instid1(VALU_DEP_3)
	v_fmamk_f16 v68, v78, 0xbbc4, v67
	v_fma_f16 v67, v78, 0xbbc4, -v67
	v_add_f16_e64 v66, v199, v66
	s_delay_alu instid0(VALU_DEP_3) | instskip(NEXT) | instid1(VALU_DEP_3)
	v_add_f16_e64 v68, v192, v68
	v_add_f16_e64 v67, v192, v67
	s_delay_alu instid0(VALU_DEP_3) | instskip(NEXT) | instid1(VALU_DEP_3)
	v_add_f16_e64 v66, v200, v66
	v_add_f16_e32 v68, v70, v68
	v_mul_f16_e64 v70, 0xb9fd, v222
	s_delay_alu instid0(VALU_DEP_4) | instskip(NEXT) | instid1(VALU_DEP_4)
	v_add_f16_e32 v67, v69, v67
	v_add_f16_e64 v66, v191, v66
	s_delay_alu instid0(VALU_DEP_3) | instskip(SKIP_1) | instid1(VALU_DEP_3)
	v_fma_f16 v71, 0x394e, v204, v70
	v_fmac_f16_e64 v70, 0xb94e, v204
	v_pack_b32_f16 v43, v43, v66
	s_delay_alu instid0(VALU_DEP_3) | instskip(NEXT) | instid1(VALU_DEP_1)
	v_add_f16_e64 v71, v193, v71
	v_add_f16_e32 v71, v73, v71
	v_mul_f16_e64 v73, 0xb9fd, v224
	s_delay_alu instid0(VALU_DEP_1) | instskip(SKIP_1) | instid1(VALU_DEP_2)
	v_fmamk_f16 v74, v86, 0x394e, v73
	v_fmac_f16_e32 v73, 0xb94e, v86
	v_add_f16_e32 v64, v74, v64
	v_mul_f16_e64 v74, 0xb94e, v221
	s_delay_alu instid0(VALU_DEP_3) | instskip(NEXT) | instid1(VALU_DEP_2)
	v_add_f16_e32 v63, v73, v63
	v_fmamk_f16 v75, v81, 0xb9fd, v74
	v_fma_f16 v69, v81, 0xb9fd, -v74
	v_fma_f16 v74, v79, 0xb9fd, -v236
	s_delay_alu instid0(VALU_DEP_3) | instskip(SKIP_1) | instid1(VALU_DEP_4)
	v_add_f16_e32 v68, v75, v68
	v_mul_f16_e64 v75, 0x388b, v224
	v_add_f16_e32 v67, v69, v67
	v_add_f16_e64 v69, v193, v70
	s_delay_alu instid0(VALU_DEP_3) | instskip(SKIP_1) | instid1(VALU_DEP_3)
	v_fmamk_f16 v92, v86, 0x3a95, v75
	v_fmac_f16_e32 v75, 0xba95, v86
	v_add_f16_e32 v69, v72, v69
	v_fma_f16 v72, v79, 0x2fb7, -v110
	s_delay_alu instid0(VALU_DEP_4) | instskip(SKIP_1) | instid1(VALU_DEP_4)
	v_add_f16_e32 v71, v92, v71
	v_mul_f16_e64 v92, 0x388b, v225
	v_add_f16_e32 v69, v75, v69
	s_delay_alu instid0(VALU_DEP_2) | instskip(SKIP_1) | instid1(VALU_DEP_2)
	v_fmamk_f16 v93, v88, 0xba95, v92
	v_fmac_f16_e32 v92, 0x3a95, v88
	v_add_f16_e32 v64, v93, v64
	v_mul_f16_e64 v93, 0x3a95, v220
	s_delay_alu instid0(VALU_DEP_3) | instskip(NEXT) | instid1(VALU_DEP_2)
	v_add_f16_e32 v63, v92, v63
	v_fmamk_f16 v95, v82, 0x388b, v93
	v_fma_f16 v70, v82, 0x388b, -v93
	s_delay_alu instid0(VALU_DEP_2) | instskip(SKIP_1) | instid1(VALU_DEP_3)
	v_add_f16_e32 v68, v95, v68
	v_mul_f16_e64 v95, 0xb5ac, v226
	v_add_f16_e32 v67, v70, v67
	s_delay_alu instid0(VALU_DEP_2) | instskip(SKIP_1) | instid1(VALU_DEP_2)
	v_fmamk_f16 v97, v84, 0x3b7b, v95
	v_fmac_f16_e32 v95, 0xbb7b, v84
	v_add_f16_e32 v64, v97, v64
	v_mul_f16_e64 v97, 0xbb7b, v215
	s_delay_alu instid0(VALU_DEP_3) | instskip(NEXT) | instid1(VALU_DEP_2)
	v_add_f16_e32 v63, v95, v63
	v_fmamk_f16 v99, v80, 0xb5ac, v97
	v_fma_f16 v70, v80, 0xb5ac, -v97
	s_delay_alu instid0(VALU_DEP_2) | instskip(SKIP_1) | instid1(VALU_DEP_3)
	v_add_f16_e32 v68, v99, v68
	v_mul_f16_e64 v99, 0x2fb7, v227
	v_add_f16_e32 v67, v70, v67
	s_delay_alu instid0(VALU_DEP_2) | instskip(SKIP_1) | instid1(VALU_DEP_2)
	v_fmamk_f16 v102, v87, 0xbbf1, v99
	v_fmac_f16_e32 v99, 0x3bf1, v87
	v_add_f16_e32 v64, v102, v64
	v_mul_f16_e64 v102, 0xbbc4, v225
	s_delay_alu instid0(VALU_DEP_3) | instskip(NEXT) | instid1(VALU_DEP_2)
	v_add_f16_e32 v63, v99, v63
	v_fmamk_f16 v104, v88, 0xb3a8, v102
	v_fmac_f16_e32 v102, 0x33a8, v88
	s_delay_alu instid0(VALU_DEP_2) | instskip(SKIP_1) | instid1(VALU_DEP_3)
	v_add_f16_e32 v71, v104, v71
	v_mul_f16_e64 v104, 0x3bf1, v211
	v_add_f16_e32 v69, v102, v69
	s_delay_alu instid0(VALU_DEP_2) | instskip(NEXT) | instid1(VALU_DEP_1)
	v_fmamk_f16 v106, v83, 0x2fb7, v104
	v_add_f16_e32 v68, v106, v68
	v_mul_f16_e64 v106, 0xb94e, v208
	s_delay_alu instid0(VALU_DEP_2) | instskip(NEXT) | instid1(VALU_DEP_2)
	v_pack_b32_f16 v64, v68, v64
	v_fmamk_f16 v108, v78, 0xb9fd, v106
	v_fma_f16 v70, v78, 0xb9fd, -v106
	s_delay_alu instid0(VALU_DEP_2) | instskip(NEXT) | instid1(VALU_DEP_2)
	v_add_f16_e64 v108, v192, v108
	v_add_f16_e64 v70, v192, v70
	s_delay_alu instid0(VALU_DEP_2) | instskip(SKIP_1) | instid1(VALU_DEP_3)
	v_add_f16_e32 v108, v112, v108
	v_mul_f16_e64 v112, 0x3b15, v226
	v_add_f16_e32 v70, v72, v70
	s_delay_alu instid0(VALU_DEP_2) | instskip(SKIP_1) | instid1(VALU_DEP_2)
	v_fmamk_f16 v114, v84, 0xb770, v112
	v_fmac_f16_e32 v112, 0x3770, v84
	v_add_f16_e32 v71, v114, v71
	v_mul_f16_e64 v114, 0xba95, v221
	s_delay_alu instid0(VALU_DEP_3) | instskip(NEXT) | instid1(VALU_DEP_2)
	v_add_f16_e32 v69, v112, v69
	v_fmamk_f16 v115, v81, 0x388b, v114
	v_fma_f16 v72, v81, 0x388b, -v114
	s_delay_alu instid0(VALU_DEP_2) | instskip(SKIP_1) | instid1(VALU_DEP_3)
	v_add_f16_e32 v108, v115, v108
	v_mul_f16_e64 v115, 0x33a8, v220
	v_add_f16_e32 v70, v72, v70
	v_fma_f16 v72, v83, 0x2fb7, -v104
	s_delay_alu instid0(VALU_DEP_3) | instskip(SKIP_1) | instid1(VALU_DEP_3)
	v_fmamk_f16 v117, v82, 0xbbc4, v115
	v_fma_f16 v73, v82, 0xbbc4, -v115
	v_add_f16_e32 v67, v72, v67
	s_delay_alu instid0(VALU_DEP_3) | instskip(SKIP_1) | instid1(VALU_DEP_4)
	v_add_f16_e32 v108, v117, v108
	v_mul_f16_e64 v117, 0xb5ac, v227
	v_add_f16_e32 v70, v73, v70
	s_delay_alu instid0(VALU_DEP_4) | instskip(NEXT) | instid1(VALU_DEP_3)
	v_pack_b32_f16 v63, v67, v63
	v_fma_f16 v150, 0x3b7b, v87, v117
	v_fmac_f16_e32 v117, 0xbb7b, v87
	s_delay_alu instid0(VALU_DEP_2) | instskip(SKIP_1) | instid1(VALU_DEP_3)
	v_add_f16_e64 v71, v150, v71
	v_mul_f16_e64 v150, 0x3770, v215
	v_add_f16_e32 v69, v117, v69
	s_delay_alu instid0(VALU_DEP_2) | instskip(SKIP_1) | instid1(VALU_DEP_2)
	v_fma_f16 v228, 0x3b15, v80, v150
	v_fma_f16 v73, v80, 0x3b15, -v150
	v_add_f16_e64 v108, v228, v108
	v_mul_f16_e64 v228, 0xb5ac, v222
	s_delay_alu instid0(VALU_DEP_3) | instskip(NEXT) | instid1(VALU_DEP_2)
	v_add_f16_e32 v70, v73, v70
	v_fma_f16 v229, 0x3b7b, v204, v228
	v_fmac_f16_e64 v228, 0xbb7b, v204
	s_delay_alu instid0(VALU_DEP_2) | instskip(NEXT) | instid1(VALU_DEP_2)
	v_add_f16_e64 v229, v193, v229
	v_add_f16_e64 v72, v193, v228
	s_delay_alu instid0(VALU_DEP_2) | instskip(SKIP_1) | instid1(VALU_DEP_3)
	v_add_f16_e64 v229, v231, v229
	v_mul_f16_e64 v231, 0x3b15, v224
	v_add_f16_e64 v72, v230, v72
	s_delay_alu instid0(VALU_DEP_2) | instskip(SKIP_1) | instid1(VALU_DEP_2)
	v_fma_f16 v232, 0xb770, v86, v231
	v_fmac_f16_e64 v231, 0x3770, v86
	v_add_f16_e64 v229, v232, v229
	v_mul_f16_e64 v232, 0x2fb7, v225
	s_delay_alu instid0(VALU_DEP_3) | instskip(NEXT) | instid1(VALU_DEP_2)
	v_add_f16_e64 v72, v231, v72
	v_fma_f16 v233, 0x3bf1, v88, v232
	v_fmac_f16_e64 v232, 0xbbf1, v88
	s_delay_alu instid0(VALU_DEP_2) | instskip(SKIP_1) | instid1(VALU_DEP_3)
	v_add_f16_e64 v229, v233, v229
	v_mul_f16_e64 v233, 0xbb7b, v211
	v_add_f16_e64 v72, v232, v72
	s_delay_alu instid0(VALU_DEP_2) | instskip(NEXT) | instid1(VALU_DEP_1)
	v_fma_f16 v234, 0xb5ac, v83, v233
	v_add_f16_e64 v108, v234, v108
	v_mul_f16_e64 v234, 0xbb7b, v208
	s_delay_alu instid0(VALU_DEP_2) | instskip(NEXT) | instid1(VALU_DEP_2)
	v_pack_b32_f16 v71, v108, v71
	v_fma_f16 v235, 0xb5ac, v78, v234
	v_fma_f16 v73, v78, 0xb5ac, -v234
	s_delay_alu instid0(VALU_DEP_2) | instskip(NEXT) | instid1(VALU_DEP_2)
	v_add_f16_e64 v235, v192, v235
	v_add_f16_e64 v73, v192, v73
	s_delay_alu instid0(VALU_DEP_2) | instskip(SKIP_1) | instid1(VALU_DEP_3)
	v_add_f16_e64 v235, v237, v235
	v_mul_f16_e64 v237, 0xbbc4, v226
	v_add_f16_e32 v73, v74, v73
	s_delay_alu instid0(VALU_DEP_2) | instskip(SKIP_1) | instid1(VALU_DEP_2)
	v_fma_f16 v238, 0xb3a8, v84, v237
	v_fmac_f16_e64 v237, 0x33a8, v84
	v_add_f16_e64 v229, v238, v229
	v_mul_f16_e64 v238, 0x3770, v221
	s_delay_alu instid0(VALU_DEP_3) | instskip(NEXT) | instid1(VALU_DEP_2)
	v_add_f16_e64 v72, v237, v72
	v_fma_f16 v239, 0x3b15, v81, v238
	v_fma_f16 v75, v81, 0x3b15, -v238
	s_delay_alu instid0(VALU_DEP_2) | instskip(SKIP_1) | instid1(VALU_DEP_3)
	v_add_f16_e64 v235, v239, v235
	v_mul_f16_e64 v239, 0xbbf1, v220
	v_add_f16_e32 v73, v75, v73
	s_delay_alu instid0(VALU_DEP_2) | instskip(SKIP_1) | instid1(VALU_DEP_2)
	v_fma_f16 v240, 0x2fb7, v82, v239
	v_fma_f16 v75, v82, 0x2fb7, -v239
	v_add_f16_e64 v235, v240, v235
	v_mul_f16_e64 v240, 0x388b, v227
	s_delay_alu instid0(VALU_DEP_3) | instskip(SKIP_1) | instid1(VALU_DEP_3)
	v_add_f16_e32 v73, v75, v73
	v_fma_f16 v75, v83, 0xb5ac, -v233
	v_fma_f16 v241, 0xba95, v87, v240
	v_fmac_f16_e64 v240, 0x3a95, v87
	s_delay_alu instid0(VALU_DEP_3) | instskip(NEXT) | instid1(VALU_DEP_3)
	v_add_f16_e32 v70, v75, v70
	v_add_f16_e64 v229, v241, v229
	v_mul_f16_e64 v241, 0x33a8, v215
	s_delay_alu instid0(VALU_DEP_4) | instskip(NEXT) | instid1(VALU_DEP_4)
	v_add_f16_e64 v72, v240, v72
	v_pack_b32_f16 v68, v70, v69
	s_delay_alu instid0(VALU_DEP_3) | instskip(NEXT) | instid1(VALU_DEP_1)
	v_fma_f16 v242, 0xbbc4, v80, v241
	v_add_f16_e64 v235, v242, v235
	v_mul_f16_e64 v242, 0x2fb7, v222
	v_mul_f16_e64 v222, 0x388b, v222
	s_delay_alu instid0(VALU_DEP_2) | instskip(SKIP_1) | instid1(VALU_DEP_2)
	v_fma_f16 v243, 0x3bf1, v204, v242
	v_fmac_f16_e64 v242, 0xbbf1, v204
	v_add_f16_e64 v243, v193, v243
	s_delay_alu instid0(VALU_DEP_2) | instskip(NEXT) | instid1(VALU_DEP_2)
	v_add_f16_e64 v74, v193, v242
	v_add_f16_e64 v243, v245, v243
	v_mul_f16_e64 v245, 0xb5ac, v224
	v_mul_f16_e64 v224, 0xbbc4, v224
	s_delay_alu instid0(VALU_DEP_4) | instskip(NEXT) | instid1(VALU_DEP_3)
	v_add_f16_e64 v74, v244, v74
	v_fma_f16 v246, 0xbb7b, v86, v245
	v_fmac_f16_e64 v245, 0x3b7b, v86
	s_delay_alu instid0(VALU_DEP_2) | instskip(SKIP_2) | instid1(VALU_DEP_4)
	v_add_f16_e64 v243, v246, v243
	v_mul_f16_e64 v246, 0x3b15, v225
	v_mul_f16_e64 v225, 0xb9fd, v225
	v_add_f16_e64 v74, v245, v74
	s_delay_alu instid0(VALU_DEP_3) | instskip(SKIP_1) | instid1(VALU_DEP_2)
	v_fma_f16 v247, 0xb770, v88, v246
	v_fmac_f16_e64 v246, 0x3770, v88
	v_add_f16_e64 v243, v247, v243
	v_mul_f16_e64 v247, 0x3a95, v211
	s_delay_alu instid0(VALU_DEP_3) | instskip(NEXT) | instid1(VALU_DEP_2)
	v_add_f16_e64 v74, v246, v74
	v_fma_f16 v248, 0x388b, v83, v247
	s_delay_alu instid0(VALU_DEP_1) | instskip(SKIP_2) | instid1(VALU_DEP_2)
	v_add_f16_e64 v235, v248, v235
	v_mul_f16_e64 v248, 0xbbf1, v208
	v_mul_f16_e64 v208, 0xba95, v208
	v_fma_f16 v249, 0x2fb7, v78, v248
	v_fma_f16 v75, v78, 0x2fb7, -v248
	s_delay_alu instid0(VALU_DEP_2) | instskip(NEXT) | instid1(VALU_DEP_2)
	v_add_f16_e64 v249, v192, v249
	v_add_f16_e64 v75, v192, v75
	s_delay_alu instid0(VALU_DEP_2) | instskip(SKIP_2) | instid1(VALU_DEP_2)
	v_add_f16_e64 v249, v251, v249
	v_mul_f16_e64 v251, 0x388b, v226
	v_mul_f16_e64 v226, 0x2fb7, v226
	v_fma_f16 v252, 0x3a95, v84, v251
	v_fmac_f16_e64 v251, 0xba95, v84
	s_delay_alu instid0(VALU_DEP_2) | instskip(SKIP_2) | instid1(VALU_DEP_4)
	v_add_f16_e64 v243, v252, v243
	v_mul_f16_e64 v252, 0x3b7b, v221
	v_mul_f16_e64 v221, 0xb3a8, v221
	v_add_f16_e64 v74, v251, v74
	s_delay_alu instid0(VALU_DEP_3) | instskip(NEXT) | instid1(VALU_DEP_1)
	v_fma_f16 v253, 0xb5ac, v81, v252
	v_add_f16_e64 v249, v253, v249
	v_mul_f16_e64 v253, 0x3770, v220
	v_mul_f16_e64 v220, 0x394e, v220
	s_delay_alu instid0(VALU_DEP_2) | instskip(NEXT) | instid1(VALU_DEP_1)
	v_fma_f16 v254, 0x3b15, v82, v253
	v_add_f16_e64 v249, v254, v249
	v_mul_f16_e64 v254, 0xb9fd, v227
	s_delay_alu instid0(VALU_DEP_1) | instskip(SKIP_1) | instid1(VALU_DEP_2)
	v_fma_f16 v255, 0x394e, v87, v254
	v_fmac_f16_e64 v254, 0xb94e, v87
	v_add_f16_e64 v243, v255, v243
	v_mul_f16_e64 v255, 0xba95, v215
	s_delay_alu instid0(VALU_DEP_3) | instskip(NEXT) | instid1(VALU_DEP_2)
	v_add_f16_e64 v74, v254, v74
	v_fma_f16 v151, 0x388b, v80, v255
	s_delay_alu instid0(VALU_DEP_1) | instskip(SKIP_2) | instid1(VALU_DEP_2)
	v_add_f16_e64 v151, v151, v249
	v_fma_f16 v249, 0x3a95, v204, v222
	v_fmac_f16_e64 v222, 0xba95, v204
	v_add_f16_e64 v249, v193, v249
	s_delay_alu instid0(VALU_DEP_2) | instskip(NEXT) | instid1(VALU_DEP_2)
	v_add_f16_e64 v92, v193, v222
	v_add_f16_e64 v119, v119, v249
	v_fma_f16 v249, 0x33a8, v86, v224
	v_fmac_f16_e64 v224, 0xb3a8, v86
	s_delay_alu instid0(VALU_DEP_2) | instskip(SKIP_2) | instid1(VALU_DEP_2)
	v_add_f16_e64 v119, v249, v119
	v_fma_f16 v249, 0xb94e, v88, v225
	v_fmac_f16_e64 v225, 0x394e, v88
	v_add_f16_e64 v119, v249, v119
	v_fma_f16 v249, 0x388b, v78, v208
	v_fma_f16 v78, v78, 0x388b, -v208
	s_delay_alu instid0(VALU_DEP_2) | instskip(NEXT) | instid1(VALU_DEP_2)
	v_add_f16_e64 v249, v192, v249
	v_add_f16_e64 v78, v192, v78
	s_delay_alu instid0(VALU_DEP_2) | instskip(SKIP_2) | instid1(VALU_DEP_2)
	v_add_f16_e64 v120, v120, v249
	v_fma_f16 v249, 0xbbf1, v84, v226
	v_fmac_f16_e64 v226, 0x3bf1, v84
	v_add_f16_e64 v119, v249, v119
	v_fma_f16 v249, 0xbbc4, v81, v221
	s_delay_alu instid0(VALU_DEP_1) | instskip(SKIP_1) | instid1(VALU_DEP_1)
	v_add_f16_e64 v120, v249, v120
	v_mul_f16_e64 v249, 0xb94e, v211
	v_fma_f16 v121, 0xb9fd, v83, v249
	s_delay_alu instid0(VALU_DEP_1) | instskip(SKIP_1) | instid1(VALU_DEP_2)
	v_add_f16_e64 v121, v121, v151
	v_mul_f16_e64 v151, 0x3b15, v227
	v_pack_b32_f16 v66, v121, v243
	s_delay_alu instid0(VALU_DEP_2) | instskip(SKIP_1) | instid1(VALU_DEP_2)
	v_fma_f16 v227, 0xb770, v87, v151
	v_fmac_f16_e64 v151, 0x3770, v87
	v_add_f16_e64 v119, v227, v119
	v_mul_f16_e64 v227, 0xb770, v204
	s_delay_alu instid0(VALU_DEP_1) | instskip(SKIP_1) | instid1(VALU_DEP_2)
	v_sub_f16_e64 v212, v212, v227
	v_fma_f16 v227, 0xb9fd, v82, v220
	v_add_f16_e64 v212, v193, v212
	s_delay_alu instid0(VALU_DEP_2) | instskip(SKIP_2) | instid1(VALU_DEP_2)
	v_add_f16_e64 v120, v227, v120
	v_mul_f16_e64 v227, 0xba95, v85
	v_fma_f16 v85, v79, 0xbbc4, -v250
	v_sub_f16_e64 v214, v214, v227
	s_delay_alu instid0(VALU_DEP_2) | instskip(SKIP_1) | instid1(VALU_DEP_3)
	v_add_f16_e32 v75, v85, v75
	v_add_f16_e64 v85, v223, v92
	v_add_f16_e64 v212, v214, v212
	v_mul_f16_e64 v214, 0xbbf1, v86
	v_fma_f16 v86, v80, 0xbbc4, -v241
	s_delay_alu instid0(VALU_DEP_2) | instskip(NEXT) | instid1(VALU_DEP_2)
	v_sub_f16_e64 v214, v216, v214
	v_add_f16_e32 v73, v86, v73
	s_delay_alu instid0(VALU_DEP_2) | instskip(SKIP_2) | instid1(VALU_DEP_3)
	v_add_f16_e64 v205, v214, v212
	v_mul_f16_e64 v212, 0x388b, v79
	v_fma_f16 v79, v79, 0xb5ac, -v213
	v_add_f16_e64 v197, v198, v205
	s_delay_alu instid0(VALU_DEP_3) | instskip(SKIP_1) | instid1(VALU_DEP_4)
	v_add_f16_e64 v206, v212, v206
	v_mul_f16_e64 v198, 0xb94e, v84
	v_add_f16_e32 v78, v79, v78
	v_fma_f16 v79, v81, 0xb5ac, -v252
	v_fma_f16 v81, v81, 0xbbc4, -v221
	v_add_f16_e64 v194, v206, v194
	v_sub_f16_e64 v198, v219, v198
	v_fma_f16 v205, 0x2fb7, v80, v195
	v_add_f16_e32 v75, v79, v75
	v_add_f16_e32 v78, v81, v78
	v_add_f16_e64 v118, v118, v194
	v_mul_f16_e64 v194, 0xb5ac, v82
	v_fma_f16 v81, v82, 0x3b15, -v253
	v_fma_f16 v82, v82, 0xb9fd, -v220
	v_add_f16_e64 v197, v198, v197
	v_mul_f16_e64 v198, 0x3770, v211
	v_add_f16_e64 v194, v194, v207
	v_add_f16_e32 v75, v81, v75
	v_fma_f16 v81, v80, 0x388b, -v255
	v_add_f16_e32 v78, v82, v78
	v_add_f16_e64 v79, v224, v85
	v_add_f16_e64 v118, v194, v118
	v_mul_f16_e64 v194, 0xb9fd, v80
	v_fma_f16 v80, v80, 0x2fb7, -v195
	v_add_f16_e64 v120, v205, v120
	v_add_f16_e64 v79, v225, v79
	v_fma_f16 v203, 0x3b15, v83, v198
	v_add_f16_e64 v194, v194, v209
	v_add_f16_e32 v78, v80, v78
	v_fma_f16 v80, v83, 0x3b15, -v198
	v_add_f16_e32 v75, v81, v75
	v_fma_f16 v81, v83, 0x388b, -v247
	v_add_f16_e64 v118, v194, v118
	v_mul_f16_e64 v194, 0xbbc4, v83
	v_add_f16_e32 v78, v80, v78
	scratch_load_b32 v80, off, off offset:4 th:TH_LOAD_LU ; 4-byte Folded Reload
	v_add_f16_e64 v196, v196, v197
	v_fma_f16 v82, v83, 0xb9fd, -v249
	v_add_f16_e64 v194, v194, v210
	v_add_f16_e64 v79, v226, v79
	;; [unrolled: 1-line block ×3, first 2 shown]
	v_add_f16_e32 v73, v81, v73
	v_add_f16_e32 v75, v82, v75
	v_add_f16_e64 v65, v194, v118
	v_add_f16_e64 v79, v151, v79
	v_pack_b32_f16 v81, v120, v119
	v_pack_b32_f16 v82, v235, v229
	;; [unrolled: 1-line block ×6, first 2 shown]
	v_perm_b32 v72, v77, v76, 0x5040100
	s_wait_loadcnt 0x0
	v_lshl_add_u32 v80, v80, 2, v116
	ds_store_2addr_b32 v80, v43, v65 offset1:1
	ds_store_2addr_b32 v80, v81, v66 offset0:2 offset1:3
	ds_store_2addr_b32 v80, v82, v71 offset0:4 offset1:5
	;; [unrolled: 1-line block ×5, first 2 shown]
	ds_store_b32 v80, v72 offset:48
.LBB0_17:
	s_wait_alu 0xfffe
	s_or_b32 exec_lo, exec_lo, s1
	global_wb scope:SCOPE_SE
	s_wait_dscnt 0x0
	s_barrier_signal -1
	s_barrier_wait -1
	global_inv scope:SCOPE_SE
	ds_load_2addr_b32 v[63:64], v89 offset0:156 offset1:195
	v_add_nc_u32_e32 v72, 0x400, v89
	v_add_nc_u32_e32 v69, 0x800, v89
	;; [unrolled: 1-line block ×4, first 2 shown]
	ds_load_2addr_b32 v[65:66], v89 offset1:39
	ds_load_2addr_b32 v[80:81], v72 offset0:134 offset1:173
	ds_load_2addr_b32 v[82:83], v69 offset0:34 offset1:73
	ds_load_2addr_b32 v[84:85], v71 offset0:12 offset1:51
	ds_load_2addr_b32 v[86:87], v70 offset0:106 offset1:145
	ds_load_2addr_b32 v[117:118], v69 offset0:112 offset1:151
	ds_load_2addr_b32 v[67:68], v89 offset0:78 offset1:117
	ds_load_2addr_b32 v[191:192], v72 offset0:212 offset1:251
	ds_load_2addr_b32 v[193:194], v71 offset0:90 offset1:129
	ds_load_2addr_b32 v[195:196], v72 offset0:56 offset1:95
	ds_load_2addr_b32 v[197:198], v69 offset0:190 offset1:229
	ds_load_b32 v95, v89 offset:3744
	global_wb scope:SCOPE_SE
	s_wait_dscnt 0x0
	s_barrier_signal -1
	s_barrier_wait -1
	global_inv scope:SCOPE_SE
	v_lshrrev_b32_e32 v88, 16, v80
	v_lshrrev_b32_e32 v92, 16, v83
	;; [unrolled: 1-line block ×6, first 2 shown]
	v_mul_f16_e64 v201, v136, v92
	v_lshrrev_b32_e32 v102, 16, v117
	v_mul_f16_e64 v121, v139, v43
	v_mul_f16_e64 v136, v136, v83
	v_lshrrev_b32_e32 v104, 16, v85
	v_fmac_f16_e64 v201, v18, v83
	v_mul_f16_e64 v83, v134, v86
	v_fmac_f16_e32 v121, v16, v64
	v_mul_f16_e64 v64, v139, v64
	v_mul_f16_e64 v139, v138, v88
	;; [unrolled: 1-line block ×3, first 2 shown]
	v_lshrrev_b32_e32 v106, 16, v87
	v_lshrrev_b32_e32 v108, 16, v191
	v_fma_f16 v16, v16, v43, -v64
	v_fmac_f16_e64 v139, v17, v80
	v_fma_f16 v17, v17, v88, -v138
	v_mul_f16_e64 v43, v135, v93
	v_mul_f16_e64 v64, v135, v84
	;; [unrolled: 1-line block ×4, first 2 shown]
	v_lshrrev_b32_e32 v114, 16, v195
	v_fmac_f16_e32 v43, v19, v84
	v_fma_f16 v19, v19, v93, -v64
	v_fmac_f16_e32 v80, v12, v86
	v_fma_f16 v12, v12, v97, -v83
	v_fmac_f16_e32 v88, v13, v81
	v_mul_f16_e64 v64, v132, v81
	v_mul_f16_e64 v81, v130, v102
	;; [unrolled: 1-line block ×5, first 2 shown]
	v_fma_f16 v13, v13, v99, -v64
	v_fmac_f16_e32 v81, v14, v117
	v_fma_f16 v14, v14, v102, -v83
	v_mul_f16_e64 v64, v133, v106
	v_mul_f16_e64 v83, v133, v87
	v_lshrrev_b32_e32 v110, 16, v118
	v_lshrrev_b32_e32 v119, 16, v197
	v_fmac_f16_e32 v84, v15, v85
	v_fma_f16 v15, v15, v104, -v86
	v_mul_f16_e64 v85, v131, v108
	v_mul_f16_e64 v86, v131, v191
	v_fmac_f16_e32 v64, v8, v87
	v_fma_f16 v83, v8, v106, -v83
	v_mul_f16_e64 v8, v128, v118
	v_mul_f16_e32 v93, v126, v114
	v_mul_f16_e64 v97, v126, v195
	v_lshrrev_b32_e32 v112, 16, v193
	v_lshrrev_b32_e32 v115, 16, v192
	v_fmac_f16_e64 v85, v9, v191
	v_fma_f16 v86, v9, v108, -v86
	v_mul_f16_e64 v9, v127, v193
	v_fma_f16 v99, v10, v110, -v8
	v_fmac_f16_e64 v93, v4, v195
	v_fma_f16 v97, v4, v114, -v97
	v_mul_f16_e64 v4, v125, v192
	v_mul_f16_e32 v106, v124, v119
	v_mul_f16_e64 v8, v124, v197
	v_lshrrev_b32_e32 v120, 16, v194
	v_lshrrev_b32_e32 v150, 16, v196
	;; [unrolled: 1-line block ×3, first 2 shown]
	v_fma_f16 v18, v18, v92, -v136
	v_mul_f16_e64 v92, v128, v110
	v_mul_f16_e32 v87, v127, v112
	v_fma_f16 v102, v11, v112, -v9
	v_mul_f16_e32 v104, v125, v115
	v_fma_f16 v110, v5, v115, -v4
	v_fmac_f16_e64 v106, v6, v197
	v_fma_f16 v112, v6, v119, -v8
	v_mul_f16_e64 v4, v123, v194
	v_mul_f16_e64 v6, v122, v196
	v_lshrrev_b32_e32 v9, 16, v1
	v_lshrrev_b32_e32 v199, 16, v198
	v_fmac_f16_e64 v104, v5, v192
	v_mul_f16_e64 v8, v122, v150
	v_fma_f16 v114, v7, v120, -v4
	v_mul_f16_e64 v5, v9, v151
	v_mul_f16_e32 v9, v9, v82
	v_fma_f16 v4, v0, v150, -v6
	v_lshrrev_b32_e32 v6, 16, v2
	v_lshrrev_b32_e32 v200, 16, v95
	v_fmac_f16_e32 v92, v10, v118
	v_mul_f16_e32 v108, v123, v120
	v_fmac_f16_e64 v8, v0, v196
	v_fmac_f16_e32 v5, v1, v82
	v_fma_f16 v1, v1, v151, -v9
	v_add_f16_e64 v0, v139, v201
	v_mul_f16_e64 v10, v6, v199
	v_mul_f16_e64 v6, v6, v198
	v_lshrrev_b32_e32 v119, 16, v3
	v_add_f16_e32 v9, v65, v121
	v_fmac_f16_e64 v108, v7, v194
	v_fma_f16 v0, -0.5, v0, v65
	v_sub_f16_e32 v115, v16, v19
	v_mul_f16_e64 v82, v119, v200
	v_fma_f16 v7, v2, v199, -v6
	v_add_f16_e64 v6, v9, v139
	v_lshrrev_b32_e32 v79, 16, v65
	v_fmac_f16_e64 v87, v11, v193
	v_fmac_f16_e64 v10, v2, v198
	v_fmac_f16_e32 v82, v3, v95
	v_fmamk_f16 v2, v115, 0xbb9c, v0
	v_sub_f16_e32 v117, v17, v18
	v_sub_f16_e64 v9, v121, v139
	v_sub_f16_e64 v11, v43, v201
	v_add_f16_e32 v118, v121, v43
	v_mul_f16_e32 v95, v119, v95
	v_add_f16_e64 v119, v6, v201
	v_fmac_f16_e32 v0, 0x3b9c, v115
	v_fmac_f16_e32 v2, 0xb8b4, v117
	v_add_f16_e32 v120, v9, v11
	v_fma_f16 v6, -0.5, v118, v65
	v_fma_f16 v11, v3, v200, -v95
	v_add_f16_e32 v3, v119, v43
	v_sub_f16_e64 v65, v139, v121
	v_sub_f16_e64 v95, v201, v43
	v_fmac_f16_e32 v0, 0x38b4, v117
	v_add_f16_e32 v118, v79, v16
	v_add_f16_e32 v119, v17, v18
	v_fmac_f16_e32 v2, 0x34f2, v120
	v_fmamk_f16 v9, v117, 0x3b9c, v6
	v_add_f16_e32 v65, v65, v95
	v_fmac_f16_e32 v6, 0xbb9c, v117
	v_add_f16_e32 v95, v118, v17
	v_fma_f16 v117, -0.5, v119, v79
	v_sub_f16_e32 v43, v121, v43
	v_fmac_f16_e32 v0, 0x34f2, v120
	v_add_f16_e32 v118, v16, v19
	v_sub_f16_e32 v120, v16, v17
	v_sub_f16_e32 v16, v17, v16
	v_sub_f16_e32 v17, v18, v19
	v_fmac_f16_e32 v9, 0xb8b4, v115
	v_fmac_f16_e32 v6, 0x38b4, v115
	v_add_f16_e32 v95, v95, v18
	v_fmamk_f16 v115, v43, 0x3b9c, v117
	v_sub_f16_e64 v119, v139, v201
	v_sub_f16_e32 v121, v19, v18
	v_fmac_f16_e32 v79, -0.5, v118
	v_fmac_f16_e32 v117, 0xbb9c, v43
	v_add_f16_e32 v18, v88, v81
	v_add_f16_e32 v16, v16, v17
	;; [unrolled: 1-line block ×3, first 2 shown]
	v_lshrrev_b32_e32 v75, 16, v66
	v_fmac_f16_e32 v9, 0x34f2, v65
	v_fmac_f16_e32 v6, 0x34f2, v65
	v_add_f16_e32 v65, v95, v19
	v_fmac_f16_e32 v115, 0x38b4, v119
	v_add_f16_e32 v95, v120, v121
	v_fmamk_f16 v118, v119, 0xbb9c, v79
	v_fmac_f16_e32 v117, 0xb8b4, v119
	v_fma_f16 v18, -0.5, v18, v66
	v_sub_f16_e32 v19, v12, v15
	v_fmac_f16_e32 v79, 0x3b9c, v119
	v_add_f16_e32 v17, v17, v88
	v_sub_f16_e32 v120, v80, v88
	v_sub_f16_e32 v121, v84, v81
	v_add_f16_e32 v122, v80, v84
	v_fmac_f16_e32 v115, 0x34f2, v95
	v_fmac_f16_e32 v118, 0x38b4, v43
	;; [unrolled: 1-line block ×3, first 2 shown]
	v_fmamk_f16 v95, v19, 0xbb9c, v18
	v_sub_f16_e32 v119, v13, v14
	v_fmac_f16_e32 v79, 0xb8b4, v43
	v_add_f16_e32 v17, v17, v81
	v_add_f16_e32 v43, v120, v121
	v_fmac_f16_e32 v66, -0.5, v122
	v_fmac_f16_e32 v18, 0x3b9c, v19
	v_sub_f16_e32 v120, v88, v80
	v_sub_f16_e32 v121, v81, v84
	v_add_f16_e32 v122, v75, v12
	v_add_f16_e32 v123, v13, v14
	v_fmac_f16_e32 v118, 0x34f2, v16
	v_fmac_f16_e32 v95, 0xb8b4, v119
	;; [unrolled: 1-line block ×3, first 2 shown]
	v_add_f16_e32 v16, v17, v84
	v_fmamk_f16 v17, v119, 0x3b9c, v66
	v_fmac_f16_e32 v18, 0x38b4, v119
	v_add_f16_e32 v120, v120, v121
	v_fmac_f16_e32 v66, 0xbb9c, v119
	v_add_f16_e32 v119, v122, v13
	v_fma_f16 v121, -0.5, v123, v75
	v_sub_f16_e32 v80, v80, v84
	v_add_f16_e32 v84, v12, v15
	v_sub_f16_e32 v81, v88, v81
	v_sub_f16_e32 v88, v12, v13
	;; [unrolled: 1-line block ×4, first 2 shown]
	v_fmac_f16_e32 v95, 0x34f2, v43
	v_fmac_f16_e32 v17, 0xb8b4, v19
	;; [unrolled: 1-line block ×4, first 2 shown]
	v_add_f16_e32 v19, v119, v14
	v_fmamk_f16 v43, v80, 0x3b9c, v121
	v_sub_f16_e32 v119, v15, v14
	v_fmac_f16_e32 v75, -0.5, v84
	v_fmac_f16_e32 v121, 0xbb9c, v80
	v_add_f16_e32 v14, v85, v92
	v_add_f16_e32 v12, v12, v13
	;; [unrolled: 1-line block ×3, first 2 shown]
	v_lshrrev_b32_e32 v78, 16, v67
	v_add_f16_e32 v19, v19, v15
	v_fmac_f16_e32 v43, 0x38b4, v81
	v_add_f16_e32 v84, v88, v119
	v_fmamk_f16 v88, v81, 0xbb9c, v75
	v_fmac_f16_e32 v121, 0xb8b4, v81
	v_fma_f16 v14, -0.5, v14, v67
	v_sub_f16_e32 v15, v83, v102
	v_fmac_f16_e32 v75, 0x3b9c, v81
	v_add_f16_e32 v13, v13, v85
	v_add_f16_e32 v122, v64, v87
	v_fmac_f16_e32 v17, 0x34f2, v120
	v_fmac_f16_e32 v66, 0x34f2, v120
	;; [unrolled: 1-line block ×5, first 2 shown]
	v_fmamk_f16 v84, v15, 0xbb9c, v14
	v_sub_f16_e32 v81, v86, v99
	v_sub_f16_e32 v119, v64, v85
	;; [unrolled: 1-line block ×3, first 2 shown]
	v_fmac_f16_e32 v75, 0xb8b4, v80
	v_add_f16_e32 v13, v13, v92
	v_fma_f16 v67, -0.5, v122, v67
	v_fmac_f16_e32 v14, 0x3b9c, v15
	v_add_f16_e32 v122, v78, v83
	v_fmac_f16_e32 v88, 0x34f2, v12
	v_fmac_f16_e32 v84, 0xb8b4, v81
	v_add_f16_e32 v80, v119, v120
	v_fmac_f16_e32 v75, 0x34f2, v12
	v_add_f16_e32 v12, v13, v87
	v_fmamk_f16 v13, v81, 0x3b9c, v67
	v_sub_f16_e32 v119, v85, v64
	v_sub_f16_e32 v120, v92, v87
	v_fmac_f16_e32 v14, 0x38b4, v81
	v_add_f16_e32 v123, v86, v99
	v_fmac_f16_e32 v67, 0xbb9c, v81
	v_add_f16_e32 v81, v122, v86
	v_fmac_f16_e32 v84, 0x34f2, v80
	v_fmac_f16_e32 v13, 0xb8b4, v15
	v_add_f16_e32 v119, v119, v120
	v_fma_f16 v120, -0.5, v123, v78
	v_sub_f16_e32 v64, v64, v87
	v_fmac_f16_e32 v14, 0x34f2, v80
	v_fmac_f16_e32 v67, 0x38b4, v15
	v_add_f16_e32 v15, v81, v99
	v_add_f16_e32 v80, v83, v102
	v_sub_f16_e32 v81, v85, v92
	v_sub_f16_e32 v85, v83, v86
	;; [unrolled: 1-line block ×3, first 2 shown]
	v_fmamk_f16 v87, v64, 0x3b9c, v120
	v_fmac_f16_e32 v78, -0.5, v80
	v_fmac_f16_e32 v120, 0xbb9c, v64
	v_sub_f16_e32 v83, v86, v83
	v_add_f16_e32 v80, v85, v92
	v_sub_f16_e32 v86, v99, v102
	v_add_f16_e32 v92, v104, v106
	v_lshrrev_b32_e32 v74, 16, v68
	v_fmac_f16_e32 v87, 0x38b4, v81
	v_fmamk_f16 v85, v81, 0xbb9c, v78
	v_fmac_f16_e32 v120, 0xb8b4, v81
	v_add_f16_e32 v83, v83, v86
	v_add_f16_e32 v86, v68, v93
	v_fma_f16 v92, -0.5, v92, v68
	v_sub_f16_e32 v99, v97, v114
	v_fmac_f16_e32 v78, 0x3b9c, v81
	v_add_f16_e32 v122, v93, v108
	v_fmac_f16_e32 v13, 0x34f2, v119
	v_fmac_f16_e32 v67, 0x34f2, v119
	v_add_f16_e32 v15, v15, v102
	v_fmac_f16_e32 v87, 0x34f2, v80
	v_fmac_f16_e32 v85, 0x38b4, v64
	;; [unrolled: 1-line block ×3, first 2 shown]
	v_add_f16_e32 v80, v86, v104
	v_fmamk_f16 v86, v99, 0xbb9c, v92
	v_sub_f16_e32 v81, v110, v112
	v_sub_f16_e32 v102, v93, v104
	;; [unrolled: 1-line block ×3, first 2 shown]
	v_fmac_f16_e32 v78, 0xb8b4, v64
	v_fmac_f16_e32 v68, -0.5, v122
	v_fmac_f16_e32 v92, 0x3b9c, v99
	v_add_f16_e32 v122, v74, v97
	v_fmac_f16_e32 v85, 0x34f2, v83
	v_add_f16_e32 v64, v80, v106
	;; [unrolled: 2-line block ×3, first 2 shown]
	v_fmac_f16_e32 v78, 0x34f2, v83
	v_fmamk_f16 v83, v81, 0x3b9c, v68
	v_sub_f16_e32 v102, v104, v93
	v_sub_f16_e32 v119, v106, v108
	v_fmac_f16_e32 v92, 0x38b4, v81
	v_add_f16_e32 v123, v110, v112
	v_fmac_f16_e32 v68, 0xbb9c, v81
	v_add_f16_e32 v81, v122, v110
	v_add_f16_e32 v64, v64, v108
	v_fmac_f16_e32 v86, 0x34f2, v80
	v_fmac_f16_e32 v83, 0xb8b4, v99
	v_add_f16_e32 v102, v102, v119
	v_fma_f16 v119, -0.5, v123, v74
	v_sub_f16_e32 v93, v93, v108
	v_fmac_f16_e32 v92, 0x34f2, v80
	v_fmac_f16_e32 v68, 0x38b4, v99
	v_add_f16_e32 v80, v81, v112
	v_add_f16_e32 v81, v97, v114
	v_sub_f16_e32 v104, v104, v106
	v_sub_f16_e32 v106, v97, v110
	;; [unrolled: 1-line block ×3, first 2 shown]
	v_fmac_f16_e32 v83, 0x34f2, v102
	v_fmamk_f16 v99, v93, 0x3b9c, v119
	v_fmac_f16_e32 v68, 0x34f2, v102
	v_fmac_f16_e32 v74, -0.5, v81
	v_add_f16_e32 v102, v80, v114
	v_add_f16_e32 v81, v106, v108
	v_fmac_f16_e32 v119, 0xbb9c, v93
	v_sub_f16_e32 v80, v110, v97
	v_sub_f16_e32 v97, v112, v114
	v_add_f16_e32 v108, v5, v10
	v_fmac_f16_e32 v99, 0x38b4, v104
	v_fmamk_f16 v106, v104, 0xbb9c, v74
	v_fmac_f16_e32 v119, 0xb8b4, v104
	v_add_f16_e32 v97, v80, v97
	v_fmac_f16_e32 v74, 0x3b9c, v104
	v_add_f16_e32 v104, v63, v8
	v_fma_f16 v80, -0.5, v108, v63
	v_sub_f16_e32 v108, v4, v11
	v_fmac_f16_e32 v99, 0x34f2, v81
	v_fmac_f16_e32 v106, 0x38b4, v93
	;; [unrolled: 1-line block ×4, first 2 shown]
	v_add_f16_e32 v81, v104, v5
	v_fmamk_f16 v93, v108, 0xbb9c, v80
	v_sub_f16_e32 v104, v1, v7
	v_sub_f16_e32 v110, v8, v5
	;; [unrolled: 1-line block ×3, first 2 shown]
	v_fmac_f16_e32 v80, 0x3b9c, v108
	v_add_f16_e32 v114, v8, v82
	v_lshrrev_b32_e32 v73, 16, v63
	v_add_f16_e32 v81, v81, v10
	v_fmac_f16_e32 v93, 0xb8b4, v104
	v_add_f16_e32 v110, v110, v112
	v_fmac_f16_e32 v80, 0x38b4, v104
	v_fmac_f16_e32 v63, -0.5, v114
	v_sub_f16_e32 v112, v5, v8
	v_sub_f16_e32 v114, v10, v82
	v_fmac_f16_e32 v106, 0x34f2, v97
	v_fmac_f16_e32 v74, 0x34f2, v97
	v_add_f16_e32 v97, v81, v82
	v_fmac_f16_e32 v93, 0x34f2, v110
	v_fmac_f16_e32 v80, 0x34f2, v110
	v_fmamk_f16 v110, v104, 0x3b9c, v63
	v_add_f16_e32 v81, v1, v7
	v_fmac_f16_e32 v63, 0xbb9c, v104
	v_sub_f16_e32 v8, v8, v82
	v_add_f16_e32 v82, v112, v114
	v_add_f16_e32 v112, v4, v11
	;; [unrolled: 1-line block ×3, first 2 shown]
	v_fma_f16 v81, -0.5, v81, v73
	v_fmac_f16_e32 v110, 0xb8b4, v108
	v_fmac_f16_e32 v63, 0x38b4, v108
	v_sub_f16_e32 v5, v5, v10
	v_fmac_f16_e32 v73, -0.5, v112
	v_add_f16_e32 v104, v104, v1
	v_fmac_f16_e32 v110, 0x34f2, v82
	v_fmac_f16_e32 v63, 0x34f2, v82
	v_sub_f16_e32 v82, v4, v1
	v_fmamk_f16 v112, v5, 0xbb9c, v73
	v_sub_f16_e32 v1, v1, v4
	v_sub_f16_e32 v4, v7, v11
	v_fmac_f16_e32 v73, 0x3b9c, v5
	v_fmamk_f16 v108, v8, 0x3b9c, v81
	v_add_f16_e32 v10, v104, v7
	v_sub_f16_e32 v104, v11, v7
	v_fmac_f16_e32 v81, 0xbb9c, v8
	v_fmac_f16_e32 v112, 0x38b4, v8
	v_add_f16_e32 v1, v1, v4
	v_fmac_f16_e32 v73, 0xb8b4, v8
	v_fmac_f16_e32 v108, 0x38b4, v5
	v_add_f16_e32 v7, v82, v104
	v_fmac_f16_e32 v81, 0xb8b4, v5
	v_fmac_f16_e32 v112, 0x34f2, v1
	;; [unrolled: 1-line block ×3, first 2 shown]
	v_pack_b32_f16 v1, v3, v65
	v_pack_b32_f16 v2, v2, v115
	;; [unrolled: 1-line block ×5, first 2 shown]
	v_fmac_f16_e32 v108, 0x34f2, v7
	v_fmac_f16_e32 v81, 0x34f2, v7
	v_pack_b32_f16 v6, v16, v19
	v_pack_b32_f16 v7, v95, v43
	;; [unrolled: 1-line block ×4, first 2 shown]
	ds_store_2addr_b32 v137, v1, v2 offset1:13
	ds_store_2addr_b32 v137, v3, v5 offset0:26 offset1:39
	ds_store_b32 v137, v0 offset:208
	ds_store_2addr_b32 v140, v6, v7 offset1:13
	ds_store_2addr_b32 v140, v8, v9 offset0:26 offset1:39
	v_pack_b32_f16 v0, v18, v121
	v_pack_b32_f16 v1, v12, v15
	;; [unrolled: 1-line block ×3, first 2 shown]
	v_add_f16_e32 v4, v10, v11
	v_pack_b32_f16 v3, v13, v85
	v_pack_b32_f16 v5, v67, v78
	v_pack_b32_f16 v6, v14, v120
	v_pack_b32_f16 v7, v64, v102
	v_pack_b32_f16 v8, v86, v99
	ds_store_b32 v140, v0 offset:208
	ds_store_2addr_b32 v141, v1, v2 offset1:13
	ds_store_2addr_b32 v141, v3, v5 offset0:26 offset1:39
	ds_store_b32 v141, v6 offset:208
	ds_store_2addr_b32 v142, v7, v8 offset1:13
	v_pack_b32_f16 v0, v83, v106
	v_pack_b32_f16 v1, v68, v74
	v_pack_b32_f16 v2, v92, v119
	v_pack_b32_f16 v3, v97, v4
	v_pack_b32_f16 v4, v93, v108
	v_pack_b32_f16 v5, v110, v112
	v_pack_b32_f16 v6, v63, v73
	v_pack_b32_f16 v7, v80, v81
	ds_store_2addr_b32 v142, v0, v1 offset0:26 offset1:39
	ds_store_b32 v142, v2 offset:208
	ds_store_2addr_b32 v143, v3, v4 offset1:13
	ds_store_2addr_b32 v143, v5, v6 offset0:26 offset1:39
	ds_store_b32 v143, v7 offset:208
	v_add_nc_u32_e32 v0, 0x600, v89
	global_wb scope:SCOPE_SE
	s_wait_dscnt 0x0
	s_barrier_signal -1
	s_barrier_wait -1
	global_inv scope:SCOPE_SE
	ds_load_2addr_b32 v[6:7], v89 offset1:39
	ds_load_2addr_b32 v[65:66], v72 offset0:69 offset1:108
	ds_load_2addr_b32 v[63:64], v69 offset0:138 offset1:177
	;; [unrolled: 1-line block ×11, first 2 shown]
	s_and_saveexec_b32 s1, s0
	s_cbranch_execz .LBB0_19
; %bb.18:
	ds_load_b32 v80, v89 offset:1248
	ds_load_b32 v76, v89 offset:2548
	;; [unrolled: 1-line block ×3, first 2 shown]
	s_wait_dscnt 0x2
	v_lshrrev_b32_e32 v81, 16, v80
	s_wait_dscnt 0x1
	v_lshrrev_b32_e32 v77, 16, v76
	;; [unrolled: 2-line block ×3, first 2 shown]
.LBB0_19:
	s_wait_alu 0xfffe
	s_or_b32 exec_lo, exec_lo, s1
	s_wait_dscnt 0xa
	v_lshrrev_b32_e32 v71, 16, v65
	s_wait_dscnt 0x9
	v_lshrrev_b32_e32 v72, 16, v63
	v_lshrrev_b32_e32 v74, 16, v66
	v_mul_f16_e64 v110, v167, v65
	v_lshrrev_b32_e32 v75, 16, v64
	v_mul_f16_e64 v106, v167, v71
	v_mul_f16_e64 v114, v162, v72
	s_wait_dscnt 0x7
	v_lshrrev_b32_e32 v79, 16, v18
	s_wait_dscnt 0x6
	v_lshrrev_b32_e32 v82, 16, v16
	v_lshrrev_b32_e32 v84, 16, v19
	v_fmac_f16_e32 v106, v55, v65
	v_mul_f16_e64 v65, v162, v63
	v_fma_f16 v55, v55, v71, -v110
	v_mul_f16_e64 v71, v163, v74
	v_fmac_f16_e32 v114, v56, v63
	v_mul_f16_e64 v63, v163, v66
	v_fma_f16 v56, v56, v72, -v65
	v_mul_f16_e64 v65, v160, v75
	v_fmac_f16_e32 v71, v53, v66
	v_mul_f16_e64 v66, v160, v64
	v_fma_f16 v53, v53, v74, -v63
	v_mul_f16_e64 v63, v165, v79
	v_lshrrev_b32_e32 v85, 16, v17
	v_fmac_f16_e32 v65, v54, v64
	v_mul_f16_e64 v64, v165, v18
	v_fma_f16 v54, v54, v75, -v66
	v_mul_f16_e64 v66, v161, v82
	v_fmac_f16_e32 v63, v51, v18
	v_mul_f16_e64 v18, v161, v16
	s_wait_dscnt 0x4
	v_lshrrev_b32_e32 v87, 16, v14
	v_fma_f16 v51, v51, v79, -v64
	v_mul_f16_e64 v64, v158, v84
	v_fmac_f16_e32 v66, v52, v16
	v_mul_f16_e64 v16, v158, v19
	v_fma_f16 v18, v52, v82, -v18
	v_mul_f16_e64 v52, v156, v85
	s_wait_dscnt 0x3
	v_lshrrev_b32_e32 v88, 16, v12
	v_lshrrev_b32_e32 v93, 16, v15
	v_fmac_f16_e32 v64, v49, v19
	v_mul_f16_e64 v19, v156, v17
	v_fma_f16 v16, v49, v84, -v16
	v_mul_f16_e64 v49, v155, v87
	v_fmac_f16_e32 v52, v50, v17
	v_mul_f16_e64 v17, v155, v14
	v_lshrrev_b32_e32 v95, 16, v13
	v_fma_f16 v19, v50, v85, -v19
	v_mul_f16_e64 v50, v154, v88
	v_fmac_f16_e32 v49, v47, v14
	v_mul_f16_e64 v14, v154, v12
	v_fma_f16 v17, v47, v87, -v17
	v_mul_f16_e64 v47, v170, v93
	s_wait_dscnt 0x1
	v_lshrrev_b32_e32 v99, 16, v10
	s_wait_dscnt 0x0
	v_lshrrev_b32_e32 v102, 16, v8
	v_fmac_f16_e32 v50, v48, v12
	v_mul_f16_e64 v12, v170, v15
	v_fma_f16 v14, v48, v88, -v14
	v_mul_f16_e64 v48, v166, v95
	v_fmac_f16_e32 v47, v61, v15
	v_mul_f16_e64 v15, v166, v13
	v_lshrrev_b32_e32 v108, 16, v11
	v_fma_f16 v12, v61, v93, -v12
	v_mul_f16_e64 v61, v169, v99
	v_fmac_f16_e32 v48, v62, v13
	v_mul_f16_e64 v13, v169, v10
	v_fma_f16 v15, v62, v95, -v15
	v_mul_f16_e64 v62, v164, v102
	v_lshrrev_b32_e32 v112, 16, v9
	v_fmac_f16_e32 v61, v59, v10
	v_mul_f16_e64 v10, v164, v8
	v_fma_f16 v13, v59, v99, -v13
	v_mul_f16_e64 v59, v159, v108
	v_fmac_f16_e32 v62, v60, v8
	v_mul_f16_e64 v8, v159, v11
	v_lshrrev_b32_e32 v43, 16, v6
	v_fma_f16 v10, v60, v102, -v10
	v_mul_f16_e64 v60, v157, v112
	v_fmac_f16_e32 v59, v57, v11
	v_mul_f16_e64 v11, v157, v9
	v_fma_f16 v8, v57, v108, -v8
	v_add_f16_e32 v57, v106, v114
	v_fmac_f16_e32 v60, v58, v9
	v_add_f16_e32 v9, v6, v106
	v_fma_f16 v11, v58, v112, -v11
	v_add_f16_e32 v58, v55, v56
	v_fma_f16 v6, -0.5, v57, v6
	v_sub_f16_e32 v57, v55, v56
	v_add_f16_e32 v55, v43, v55
	v_lshrrev_b32_e32 v73, 16, v7
	v_fmac_f16_e32 v43, -0.5, v58
	v_sub_f16_e32 v58, v106, v114
	v_fmamk_f16 v72, v57, 0xbaee, v6
	v_add_f16_e32 v55, v55, v56
	v_add_f16_e32 v56, v71, v65
	v_fmac_f16_e32 v6, 0x3aee, v57
	v_fmamk_f16 v57, v58, 0x3aee, v43
	v_add_f16_e32 v74, v7, v71
	v_fmac_f16_e32 v43, 0xbaee, v58
	v_add_f16_e32 v58, v53, v54
	v_fmac_f16_e32 v7, -0.5, v56
	v_sub_f16_e32 v56, v53, v54
	v_add_f16_e32 v53, v73, v53
	v_lshrrev_b32_e32 v78, 16, v4
	v_fmac_f16_e32 v73, -0.5, v58
	v_sub_f16_e32 v58, v71, v65
	v_add_f16_e32 v74, v74, v65
	v_add_f16_e32 v53, v53, v54
	;; [unrolled: 1-line block ×3, first 2 shown]
	v_fmamk_f16 v65, v56, 0xbaee, v7
	v_fmac_f16_e32 v7, 0x3aee, v56
	v_fmamk_f16 v56, v58, 0x3aee, v73
	v_add_f16_e32 v71, v4, v63
	v_fmac_f16_e32 v73, 0xbaee, v58
	v_add_f16_e32 v58, v51, v18
	v_fma_f16 v4, -0.5, v54, v4
	v_sub_f16_e32 v54, v51, v18
	v_add_f16_e32 v51, v78, v51
	v_lshrrev_b32_e32 v83, 16, v5
	v_fmac_f16_e32 v78, -0.5, v58
	v_sub_f16_e32 v58, v63, v66
	v_add_f16_e32 v71, v71, v66
	v_add_f16_e32 v18, v51, v18
	;; [unrolled: 1-line block ×3, first 2 shown]
	v_fmamk_f16 v63, v54, 0xbaee, v4
	v_fmac_f16_e32 v4, 0x3aee, v54
	v_fmamk_f16 v54, v58, 0x3aee, v78
	v_add_f16_e32 v66, v5, v64
	v_fmac_f16_e32 v78, 0xbaee, v58
	v_add_f16_e32 v58, v16, v19
	v_fmac_f16_e32 v5, -0.5, v51
	v_sub_f16_e32 v51, v16, v19
	v_add_f16_e32 v16, v83, v16
	v_lshrrev_b32_e32 v86, 16, v2
	v_add_f16_e32 v66, v66, v52
	v_fmac_f16_e32 v83, -0.5, v58
	v_sub_f16_e32 v52, v64, v52
	v_add_f16_e32 v16, v16, v19
	v_add_f16_e32 v19, v49, v50
	v_fmamk_f16 v58, v51, 0xbaee, v5
	v_fmac_f16_e32 v5, 0x3aee, v51
	v_fmamk_f16 v51, v52, 0x3aee, v83
	v_add_f16_e32 v64, v2, v49
	v_fmac_f16_e32 v83, 0xbaee, v52
	v_add_f16_e32 v52, v17, v14
	v_fma_f16 v2, -0.5, v19, v2
	v_sub_f16_e32 v19, v17, v14
	v_add_f16_e32 v17, v86, v17
	v_lshrrev_b32_e32 v92, 16, v3
	v_fmac_f16_e32 v86, -0.5, v52
	v_sub_f16_e32 v49, v49, v50
	v_add_f16_e32 v64, v64, v50
	v_add_f16_e32 v14, v17, v14
	v_add_f16_e32 v17, v47, v48
	v_fmamk_f16 v50, v19, 0xbaee, v2
	v_fmac_f16_e32 v2, 0x3aee, v19
	v_fmamk_f16 v19, v49, 0x3aee, v86
	v_add_f16_e32 v52, v3, v47
	v_fmac_f16_e32 v86, 0xbaee, v49
	v_add_f16_e32 v49, v12, v15
	v_fmac_f16_e32 v3, -0.5, v17
	v_sub_f16_e32 v17, v12, v15
	v_add_f16_e32 v12, v92, v12
	v_lshrrev_b32_e32 v97, 16, v0
	v_fmac_f16_e32 v92, -0.5, v49
	v_sub_f16_e32 v47, v47, v48
	v_add_f16_e32 v52, v52, v48
	v_add_f16_e32 v12, v12, v15
	;; [unrolled: 1-line block ×3, first 2 shown]
	v_fmamk_f16 v48, v17, 0xbaee, v3
	v_fmac_f16_e32 v3, 0x3aee, v17
	v_fmamk_f16 v17, v47, 0x3aee, v92
	v_add_f16_e32 v49, v0, v61
	v_fmac_f16_e32 v92, 0xbaee, v47
	v_add_f16_e32 v47, v13, v10
	v_fma_f16 v0, -0.5, v15, v0
	v_sub_f16_e32 v15, v13, v10
	v_add_f16_e32 v13, v97, v13
	v_lshrrev_b32_e32 v104, 16, v1
	v_fmac_f16_e32 v97, -0.5, v47
	v_sub_f16_e32 v47, v61, v62
	v_add_f16_e32 v9, v9, v114
	v_add_f16_e32 v10, v13, v10
	;; [unrolled: 1-line block ×4, first 2 shown]
	v_fmamk_f16 v61, v15, 0xbaee, v0
	v_fmac_f16_e32 v0, 0x3aee, v15
	v_fmamk_f16 v15, v47, 0x3aee, v97
	v_fmac_f16_e32 v97, 0xbaee, v47
	v_add_f16_e32 v47, v8, v11
	v_add_f16_e32 v62, v1, v59
	v_fmac_f16_e32 v1, -0.5, v13
	v_sub_f16_e32 v13, v8, v11
	v_add_f16_e32 v8, v104, v8
	v_fmac_f16_e32 v104, -0.5, v47
	v_sub_f16_e32 v47, v59, v60
	v_add_f16_e32 v59, v62, v60
	v_fmamk_f16 v60, v13, 0xbaee, v1
	v_fmac_f16_e32 v1, 0x3aee, v13
	v_pack_b32_f16 v9, v9, v55
	v_pack_b32_f16 v13, v72, v57
	;; [unrolled: 1-line block ×3, first 2 shown]
	global_wb scope:SCOPE_SE
	s_barrier_signal -1
	s_barrier_wait -1
	global_inv scope:SCOPE_SE
	ds_store_2addr_b32 v89, v9, v13 offset1:65
	v_pack_b32_f16 v9, v74, v53
	v_pack_b32_f16 v13, v65, v56
	;; [unrolled: 1-line block ×6, first 2 shown]
	ds_store_b32 v89, v6 offset:520
	ds_store_2addr_b32 v147, v9, v13 offset1:65
	ds_store_b32 v147, v7 offset:520
	ds_store_2addr_b32 v70, v18, v43 offset0:80 offset1:145
	ds_store_b32 v89, v4 offset:1352
	v_pack_b32_f16 v4, v66, v16
	v_pack_b32_f16 v6, v58, v51
	;; [unrolled: 1-line block ×3, first 2 shown]
	v_add_f16_e32 v8, v8, v11
	v_fmamk_f16 v11, v47, 0x3aee, v104
	v_pack_b32_f16 v7, v64, v14
	v_pack_b32_f16 v9, v50, v19
	v_add_nc_u32_e32 v13, 0x400, v145
	v_add_nc_u32_e32 v69, 0x138, v190
	;; [unrolled: 1-line block ×4, first 2 shown]
	v_fmac_f16_e32 v104, 0xbaee, v47
	v_pack_b32_f16 v12, v52, v12
	v_pack_b32_f16 v14, v48, v17
	v_add_nc_u32_e32 v16, 0x800, v146
	v_pack_b32_f16 v2, v2, v86
	v_pack_b32_f16 v3, v3, v92
	ds_store_2addr_b32 v149, v4, v6 offset1:65
	ds_store_b32 v149, v5 offset:520
	ds_store_2addr_b32 v13, v7, v9 offset0:134 offset1:199
	v_pack_b32_f16 v4, v49, v10
	v_pack_b32_f16 v5, v61, v15
	;; [unrolled: 1-line block ×5, first 2 shown]
	v_add_nc_u32_e32 v8, 0xc00, v144
	ds_store_2addr_b32 v16, v12, v14 offset0:73 offset1:138
	v_pack_b32_f16 v1, v1, v104
	ds_store_b32 v145, v2 offset:2080
	ds_store_b32 v146, v3 offset:2860
	ds_store_2addr_b32 v148, v4, v5 offset1:65
	ds_store_b32 v148, v0 offset:520
	ds_store_2addr_b32 v8, v6, v7 offset0:12 offset1:77
	ds_store_b32 v144, v1 offset:3640
	s_and_saveexec_b32 s1, s0
	s_cbranch_execz .LBB0_21
; %bb.20:
	scratch_load_b32 v5, off, off th:TH_LOAD_LU ; 4-byte Folded Reload
	v_lshrrev_b32_e32 v2, 16, v45
	v_lshrrev_b32_e32 v3, 16, v46
	s_delay_alu instid0(VALU_DEP_2) | instskip(NEXT) | instid1(VALU_DEP_2)
	v_mul_f16_e32 v0, v2, v76
	v_mul_f16_e64 v1, v3, v152
	v_mul_f16_e32 v2, v2, v77
	v_mul_f16_e64 v3, v3, v153
	s_delay_alu instid0(VALU_DEP_4) | instskip(NEXT) | instid1(VALU_DEP_4)
	v_fma_f16 v0, v45, v77, -v0
	v_fma_f16 v1, v46, v153, -v1
	s_delay_alu instid0(VALU_DEP_4) | instskip(NEXT) | instid1(VALU_DEP_4)
	v_fmac_f16_e32 v2, v45, v76
	v_fmac_f16_e64 v3, v46, v152
	s_delay_alu instid0(VALU_DEP_4) | instskip(NEXT) | instid1(VALU_DEP_4)
	v_add_f16_e32 v8, v81, v0
	v_add_f16_e32 v4, v0, v1
	v_sub_f16_e32 v0, v0, v1
	s_delay_alu instid0(VALU_DEP_4)
	v_add_f16_e32 v6, v2, v3
	v_sub_f16_e32 v7, v2, v3
	v_add_f16_e32 v2, v80, v2
	v_fma_f16 v4, -0.5, v4, v81
	v_add_f16_e32 v1, v8, v1
	v_fma_f16 v6, -0.5, v6, v80
	s_delay_alu instid0(VALU_DEP_4) | instskip(NEXT) | instid1(VALU_DEP_4)
	v_add_f16_e32 v2, v2, v3
	v_fmamk_f16 v8, v7, 0xbaee, v4
	v_fmac_f16_e32 v4, 0x3aee, v7
	s_delay_alu instid0(VALU_DEP_4) | instskip(SKIP_2) | instid1(VALU_DEP_3)
	v_fmamk_f16 v7, v0, 0x3aee, v6
	v_fmac_f16_e32 v6, 0xbaee, v0
	v_pack_b32_f16 v1, v2, v1
	v_pack_b32_f16 v3, v7, v8
	s_delay_alu instid0(VALU_DEP_3) | instskip(SKIP_2) | instid1(VALU_DEP_1)
	v_pack_b32_f16 v2, v6, v4
	s_wait_loadcnt 0x0
	v_lshl_add_u32 v5, v5, 2, v116
	v_add_nc_u32_e32 v0, 0xc00, v5
	ds_store_2addr_b32 v0, v1, v2 offset0:12 offset1:77
	ds_store_b32 v5, v3 offset:3640
.LBB0_21:
	s_wait_alu 0xfffe
	s_or_b32 exec_lo, exec_lo, s1
	global_wb scope:SCOPE_SE
	s_wait_dscnt 0x0
	s_barrier_signal -1
	s_barrier_wait -1
	global_inv scope:SCOPE_SE
	ds_load_2addr_b32 v[0:1], v89 offset0:156 offset1:195
	v_add_nc_u32_e32 v8, 0x400, v89
	v_add_nc_u32_e32 v7, 0x800, v89
	;; [unrolled: 1-line block ×4, first 2 shown]
	ds_load_2addr_b32 v[2:3], v89 offset1:39
	ds_load_2addr_b32 v[15:16], v8 offset0:134 offset1:173
	ds_load_2addr_b32 v[17:18], v7 offset0:34 offset1:73
	;; [unrolled: 1-line block ×10, first 2 shown]
	ds_load_b32 v61, v89 offset:3744
	s_mov_b32 s8, 0xaa677344
	s_mov_b32 s9, 0x3f50cdd9
	s_wait_dscnt 0xa
	v_lshrrev_b32_e32 v43, 16, v15
	s_wait_dscnt 0x9
	v_lshrrev_b32_e32 v59, 16, v18
	;; [unrolled: 2-line block ×3, first 2 shown]
	v_lshrrev_b32_e32 v19, 16, v1
	s_wait_dscnt 0x7
	v_lshrrev_b32_e32 v62, 16, v47
	v_mul_f16_e64 v82, v173, v43
	v_mul_f16_e64 v83, v173, v15
	;; [unrolled: 1-line block ×5, first 2 shown]
	v_lshrrev_b32_e32 v63, 16, v16
	s_wait_dscnt 0x6
	v_lshrrev_b32_e32 v64, 16, v49
	v_fmac_f16_e32 v82, v25, v15
	v_fmac_f16_e32 v77, v24, v1
	v_mul_f16_e64 v1, v174, v1
	v_fma_f16 v43, v25, v43, -v83
	v_fmac_f16_e32 v84, v26, v18
	v_fma_f16 v26, v26, v59, -v85
	v_mul_f16_e64 v59, v172, v60
	v_fma_f16 v86, v24, v19, -v1
	v_mul_f16_e64 v1, v172, v45
	v_mul_f16_e64 v83, v177, v62
	;; [unrolled: 1-line block ×3, first 2 shown]
	v_lshrrev_b32_e32 v65, 16, v46
	v_lshrrev_b32_e32 v66, 16, v48
	s_wait_dscnt 0x4
	v_lshrrev_b32_e32 v70, 16, v51
	v_mul_f16_e64 v85, v171, v63
	v_fmac_f16_e32 v59, v27, v45
	v_fma_f16 v27, v27, v60, -v1
	v_fmac_f16_e32 v83, v20, v47
	v_fma_f16 v45, v20, v62, -v15
	v_mul_f16_e64 v1, v171, v16
	v_mul_f16_e64 v47, v176, v64
	;; [unrolled: 1-line block ×3, first 2 shown]
	v_lshrrev_b32_e32 v71, 16, v50
	s_wait_dscnt 0x3
	v_lshrrev_b32_e32 v72, 16, v53
	v_fmac_f16_e32 v85, v21, v16
	v_mul_f16_e64 v60, v168, v65
	v_mul_f16_e64 v16, v168, v46
	v_fma_f16 v62, v21, v63, -v1
	v_fmac_f16_e32 v47, v22, v49
	v_fma_f16 v49, v22, v64, -v15
	v_mul_f16_e64 v63, v181, v66
	v_mul_f16_e64 v1, v181, v48
	;; [unrolled: 1-line block ×4, first 2 shown]
	s_wait_dscnt 0x2
	v_lshrrev_b32_e32 v73, 16, v55
	v_lshrrev_b32_e32 v74, 16, v52
	s_wait_dscnt 0x1
	v_lshrrev_b32_e32 v75, 16, v57
	v_fmac_f16_e32 v60, v23, v46
	v_fma_f16 v46, v23, v65, -v16
	v_mul_f16_e64 v65, v180, v71
	v_fmac_f16_e32 v63, v32, v48
	v_fma_f16 v32, v32, v66, -v1
	v_fmac_f16_e32 v64, v33, v51
	v_fma_f16 v33, v33, v70, -v15
	v_mul_f16_e64 v1, v180, v50
	v_mul_f16_e64 v48, v182, v72
	;; [unrolled: 1-line block ×3, first 2 shown]
	v_lshrrev_b32_e32 v76, 16, v54
	v_fmac_f16_e32 v65, v34, v50
	v_mul_f16_e64 v50, v185, v73
	v_fma_f16 v34, v34, v71, -v1
	v_fmac_f16_e32 v48, v35, v53
	v_fma_f16 v35, v35, v72, -v15
	v_mul_f16_e64 v51, v179, v74
	v_mul_f16_e64 v1, v179, v52
	;; [unrolled: 1-line block ×4, first 2 shown]
	v_lshrrev_b32_e32 v78, 16, v56
	v_lshrrev_b32_e32 v79, 16, v17
	v_lshrrev_b32_e32 v80, 16, v58
	v_mul_f16_e64 v16, v185, v55
	v_fmac_f16_e32 v50, v28, v55
	v_mul_f16_e64 v55, v178, v76
	v_fmac_f16_e32 v51, v29, v52
	v_fma_f16 v29, v29, v74, -v1
	v_fmac_f16_e32 v53, v30, v57
	v_fma_f16 v30, v30, v75, -v15
	v_mul_f16_e64 v1, v178, v54
	v_mul_f16_e64 v15, v188, v56
	s_wait_dscnt 0x0
	v_lshrrev_b32_e32 v81, 16, v61
	v_fma_f16 v28, v28, v73, -v16
	v_fmac_f16_e32 v55, v31, v54
	v_mul_f16_e64 v19, v188, v78
	v_mul_f16_e64 v18, v189, v79
	;; [unrolled: 1-line block ×3, first 2 shown]
	v_fma_f16 v31, v31, v76, -v1
	v_fma_f16 v16, v36, v78, -v15
	v_add_f16_e32 v1, v82, v84
	v_mul_f16_e64 v21, v187, v80
	v_mul_f16_e64 v15, v187, v58
	v_lshrrev_b32_e32 v14, 16, v2
	v_fmac_f16_e32 v19, v36, v56
	v_fmac_f16_e32 v18, v37, v17
	v_fma_f16 v17, v37, v79, -v20
	v_mul_f16_e64 v36, v186, v81
	v_fma_f16 v1, -0.5, v1, v2
	v_sub_f16_e32 v37, v86, v27
	v_fmac_f16_e32 v21, v38, v58
	v_fma_f16 v20, v38, v80, -v15
	v_sub_f16_e32 v23, v77, v82
	v_sub_f16_e32 v24, v59, v84
	v_add_f16_e32 v38, v77, v59
	v_mul_f16_e64 v52, v186, v61
	v_add_f16_e32 v22, v2, v77
	v_fmac_f16_e32 v36, v39, v61
	v_fmamk_f16 v15, v37, 0xbb9c, v1
	v_sub_f16_e32 v25, v43, v26
	v_add_f16_e32 v54, v23, v24
	v_fma_f16 v2, -0.5, v38, v2
	v_fma_f16 v24, v39, v81, -v52
	v_fmac_f16_e32 v1, 0x3b9c, v37
	v_sub_f16_e32 v38, v82, v77
	v_sub_f16_e32 v39, v84, v59
	v_add_f16_e32 v52, v14, v86
	v_add_f16_e32 v56, v43, v26
	v_fmac_f16_e32 v15, 0xb8b4, v25
	v_fmamk_f16 v23, v25, 0x3b9c, v2
	v_fmac_f16_e32 v1, 0x38b4, v25
	v_add_f16_e32 v38, v38, v39
	v_fmac_f16_e32 v2, 0xbb9c, v25
	v_add_f16_e32 v39, v52, v43
	v_fma_f16 v25, -0.5, v56, v14
	v_sub_f16_e32 v52, v77, v59
	v_fmac_f16_e32 v15, 0x34f2, v54
	v_fmac_f16_e32 v23, 0xb8b4, v37
	;; [unrolled: 1-line block ×4, first 2 shown]
	v_add_f16_e32 v37, v39, v26
	v_fmamk_f16 v39, v52, 0x3b9c, v25
	v_add_f16_e32 v54, v86, v27
	v_sub_f16_e32 v56, v82, v84
	v_sub_f16_e32 v57, v86, v43
	v_sub_f16_e32 v58, v27, v26
	v_fmac_f16_e32 v25, 0xbb9c, v52
	v_sub_f16_e32 v43, v43, v86
	v_sub_f16_e32 v26, v26, v27
	v_add_f16_e32 v22, v22, v82
	v_fmac_f16_e32 v23, 0x34f2, v38
	v_fmac_f16_e32 v2, 0x34f2, v38
	v_fmac_f16_e32 v14, -0.5, v54
	v_add_f16_e32 v37, v37, v27
	v_fmac_f16_e32 v39, 0x38b4, v56
	v_add_f16_e32 v38, v57, v58
	v_add_f16_e32 v27, v85, v47
	v_fmac_f16_e32 v25, 0xb8b4, v56
	v_add_f16_e32 v26, v43, v26
	v_add_f16_e32 v43, v3, v83
	v_lshrrev_b32_e32 v12, 16, v3
	v_add_f16_e32 v22, v22, v84
	v_fmamk_f16 v54, v56, 0xbb9c, v14
	v_fmac_f16_e32 v39, 0x34f2, v38
	v_fma_f16 v27, -0.5, v27, v3
	v_sub_f16_e32 v57, v45, v46
	v_fmac_f16_e32 v25, 0x34f2, v38
	v_fmac_f16_e32 v14, 0x3b9c, v56
	v_add_f16_e32 v38, v43, v85
	v_add_f16_e32 v61, v83, v60
	;; [unrolled: 1-line block ×3, first 2 shown]
	v_fmac_f16_e32 v54, 0x38b4, v52
	v_fmamk_f16 v43, v57, 0xbb9c, v27
	v_sub_f16_e32 v56, v62, v49
	v_sub_f16_e32 v58, v83, v85
	;; [unrolled: 1-line block ×3, first 2 shown]
	v_fmac_f16_e32 v14, 0xb8b4, v52
	v_add_f16_e32 v38, v38, v47
	v_fmac_f16_e32 v3, -0.5, v61
	v_fmac_f16_e32 v27, 0x3b9c, v57
	v_add_f16_e32 v61, v12, v45
	v_fmac_f16_e32 v54, 0x34f2, v26
	v_fmac_f16_e32 v43, 0xb8b4, v56
	v_add_f16_e32 v52, v58, v59
	v_fmac_f16_e32 v14, 0x34f2, v26
	v_add_f16_e32 v26, v38, v60
	v_fmamk_f16 v38, v56, 0x3b9c, v3
	v_fmac_f16_e32 v27, 0x38b4, v56
	v_fmac_f16_e32 v3, 0xbb9c, v56
	v_add_f16_e32 v56, v61, v62
	v_fmac_f16_e32 v43, 0x34f2, v52
	v_sub_f16_e32 v58, v85, v83
	v_sub_f16_e32 v59, v47, v60
	v_add_f16_e32 v66, v62, v49
	v_fmac_f16_e32 v27, 0x34f2, v52
	v_add_f16_e32 v52, v56, v49
	v_fmac_f16_e32 v38, 0xb8b4, v57
	v_add_f16_e32 v58, v58, v59
	v_fma_f16 v59, -0.5, v66, v12
	v_sub_f16_e32 v60, v83, v60
	v_fmac_f16_e32 v3, 0x38b4, v57
	v_add_f16_e32 v57, v45, v46
	v_sub_f16_e32 v61, v45, v62
	v_sub_f16_e32 v66, v46, v49
	v_add_f16_e32 v52, v52, v46
	v_sub_f16_e32 v45, v62, v45
	v_sub_f16_e32 v46, v49, v46
	v_fmamk_f16 v56, v60, 0x3b9c, v59
	v_sub_f16_e32 v47, v85, v47
	v_fmac_f16_e32 v12, -0.5, v57
	v_fmac_f16_e32 v59, 0xbb9c, v60
	v_add_f16_e32 v45, v45, v46
	v_add_f16_e32 v46, v4, v63
	v_fmac_f16_e32 v38, 0x34f2, v58
	v_fmac_f16_e32 v3, 0x34f2, v58
	;; [unrolled: 1-line block ×3, first 2 shown]
	v_add_f16_e32 v57, v61, v66
	v_fmamk_f16 v58, v47, 0xbb9c, v12
	v_add_f16_e32 v49, v64, v65
	v_fmac_f16_e32 v59, 0xb8b4, v47
	v_fmac_f16_e32 v12, 0x3b9c, v47
	v_add_f16_e32 v46, v46, v64
	v_add_f16_e32 v70, v63, v48
	v_lshrrev_b32_e32 v13, 16, v4
	v_fmac_f16_e32 v56, 0x34f2, v57
	v_fmac_f16_e32 v58, 0x38b4, v60
	v_fma_f16 v49, -0.5, v49, v4
	v_sub_f16_e32 v61, v32, v35
	v_fmac_f16_e32 v59, 0x34f2, v57
	v_sub_f16_e32 v57, v33, v34
	v_sub_f16_e32 v62, v63, v64
	v_sub_f16_e32 v66, v48, v65
	v_fmac_f16_e32 v12, 0xb8b4, v60
	v_add_f16_e32 v46, v46, v65
	v_fma_f16 v4, -0.5, v70, v4
	v_fmac_f16_e32 v58, 0x34f2, v45
	v_fmamk_f16 v47, v61, 0xbb9c, v49
	v_add_f16_e32 v60, v62, v66
	v_fmac_f16_e32 v12, 0x34f2, v45
	v_add_f16_e32 v45, v46, v48
	v_fmac_f16_e32 v49, 0x3b9c, v61
	v_fmamk_f16 v46, v57, 0x3b9c, v4
	v_sub_f16_e32 v62, v64, v63
	v_sub_f16_e32 v66, v65, v48
	v_add_f16_e32 v70, v13, v32
	v_add_f16_e32 v71, v33, v34
	v_fmac_f16_e32 v4, 0xbb9c, v57
	v_fmac_f16_e32 v47, 0xb8b4, v57
	v_fmac_f16_e32 v49, 0x38b4, v57
	v_fmac_f16_e32 v46, 0xb8b4, v61
	v_add_f16_e32 v62, v62, v66
	v_add_f16_e32 v57, v70, v33
	v_fma_f16 v66, -0.5, v71, v13
	v_sub_f16_e32 v48, v63, v48
	v_fmac_f16_e32 v4, 0x38b4, v61
	v_add_f16_e32 v61, v32, v35
	v_sub_f16_e32 v63, v64, v65
	v_sub_f16_e32 v64, v32, v33
	;; [unrolled: 1-line block ×4, first 2 shown]
	v_fmac_f16_e32 v47, 0x34f2, v60
	v_fmac_f16_e32 v49, 0x34f2, v60
	v_add_f16_e32 v57, v57, v34
	v_fmamk_f16 v60, v48, 0x3b9c, v66
	v_sub_f16_e32 v65, v35, v34
	v_fmac_f16_e32 v13, -0.5, v61
	v_fmac_f16_e32 v66, 0xbb9c, v48
	v_add_f16_e32 v34, v51, v53
	v_add_f16_e32 v32, v32, v33
	;; [unrolled: 1-line block ×3, first 2 shown]
	v_lshrrev_b32_e32 v11, 16, v5
	v_fmac_f16_e32 v46, 0x34f2, v62
	v_fmac_f16_e32 v4, 0x34f2, v62
	v_add_f16_e32 v57, v57, v35
	v_fmac_f16_e32 v60, 0x38b4, v63
	v_add_f16_e32 v61, v64, v65
	v_fmamk_f16 v62, v63, 0xbb9c, v13
	v_fmac_f16_e32 v66, 0xb8b4, v63
	v_fma_f16 v34, -0.5, v34, v5
	v_sub_f16_e32 v35, v28, v31
	v_fmac_f16_e32 v13, 0x3b9c, v63
	v_add_f16_e32 v33, v33, v51
	v_sub_f16_e32 v64, v50, v51
	v_sub_f16_e32 v65, v55, v53
	v_add_f16_e32 v70, v50, v55
	v_fmac_f16_e32 v60, 0x34f2, v61
	v_fmac_f16_e32 v62, 0x38b4, v48
	;; [unrolled: 1-line block ×3, first 2 shown]
	v_fmamk_f16 v61, v35, 0xbb9c, v34
	v_sub_f16_e32 v63, v29, v30
	v_fmac_f16_e32 v13, 0xb8b4, v48
	v_add_f16_e32 v33, v33, v53
	v_add_f16_e32 v48, v64, v65
	v_fmac_f16_e32 v5, -0.5, v70
	v_fmac_f16_e32 v34, 0x3b9c, v35
	v_sub_f16_e32 v64, v51, v50
	v_sub_f16_e32 v65, v53, v55
	v_add_f16_e32 v70, v11, v28
	v_add_f16_e32 v71, v29, v30
	v_fmac_f16_e32 v62, 0x34f2, v32
	v_fmac_f16_e32 v61, 0xb8b4, v63
	;; [unrolled: 1-line block ×3, first 2 shown]
	v_add_f16_e32 v32, v33, v55
	v_fmamk_f16 v33, v63, 0x3b9c, v5
	v_fmac_f16_e32 v34, 0x38b4, v63
	v_add_f16_e32 v64, v64, v65
	v_fmac_f16_e32 v5, 0xbb9c, v63
	v_add_f16_e32 v63, v70, v29
	v_fma_f16 v65, -0.5, v71, v11
	v_sub_f16_e32 v50, v50, v55
	v_add_f16_e32 v55, v28, v31
	v_fmac_f16_e32 v61, 0x34f2, v48
	v_fmac_f16_e32 v33, 0xb8b4, v35
	;; [unrolled: 1-line block ×4, first 2 shown]
	v_add_f16_e32 v35, v63, v30
	v_fmamk_f16 v48, v50, 0x3b9c, v65
	v_sub_f16_e32 v51, v51, v53
	v_sub_f16_e32 v53, v28, v29
	;; [unrolled: 1-line block ×3, first 2 shown]
	v_fmac_f16_e32 v11, -0.5, v55
	v_fmac_f16_e32 v65, 0xbb9c, v50
	v_sub_f16_e32 v28, v29, v28
	v_sub_f16_e32 v29, v30, v31
	v_add_f16_e32 v30, v18, v21
	v_add_f16_e32 v35, v35, v31
	v_fmac_f16_e32 v48, 0x38b4, v51
	v_add_f16_e32 v53, v53, v63
	v_fmamk_f16 v55, v51, 0xbb9c, v11
	v_fmac_f16_e32 v65, 0xb8b4, v51
	v_add_f16_e32 v28, v28, v29
	v_fmac_f16_e32 v11, 0x3b9c, v51
	v_add_f16_e32 v29, v0, v19
	v_fma_f16 v30, -0.5, v30, v0
	v_sub_f16_e32 v31, v16, v24
	v_fmac_f16_e32 v33, 0x34f2, v64
	v_fmac_f16_e32 v5, 0x34f2, v64
	;; [unrolled: 1-line block ×6, first 2 shown]
	v_add_f16_e32 v29, v29, v18
	v_fmamk_f16 v50, v31, 0xbb9c, v30
	v_sub_f16_e32 v51, v17, v20
	v_sub_f16_e32 v53, v19, v18
	;; [unrolled: 1-line block ×3, first 2 shown]
	v_fmac_f16_e32 v30, 0x3b9c, v31
	v_add_f16_e32 v64, v19, v36
	v_lshrrev_b32_e32 v10, 16, v0
	v_add_f16_e32 v29, v29, v21
	v_fmac_f16_e32 v50, 0xb8b4, v51
	v_add_f16_e32 v53, v53, v63
	v_fmac_f16_e32 v30, 0x38b4, v51
	v_fmac_f16_e32 v0, -0.5, v64
	v_sub_f16_e32 v63, v18, v19
	v_sub_f16_e32 v64, v21, v36
	v_fmac_f16_e32 v55, 0x34f2, v28
	v_fmac_f16_e32 v11, 0x34f2, v28
	v_add_f16_e32 v28, v29, v36
	v_fmac_f16_e32 v50, 0x34f2, v53
	v_fmac_f16_e32 v30, 0x34f2, v53
	v_fmamk_f16 v29, v51, 0x3b9c, v0
	v_add_f16_e32 v53, v17, v20
	v_fmac_f16_e32 v0, 0xbb9c, v51
	v_add_f16_e32 v51, v10, v16
	v_sub_f16_e32 v19, v19, v36
	v_add_f16_e32 v36, v63, v64
	v_add_f16_e32 v63, v16, v24
	v_fma_f16 v53, -0.5, v53, v10
	v_fmac_f16_e32 v29, 0xb8b4, v31
	v_fmac_f16_e32 v0, 0x38b4, v31
	v_add_f16_e32 v31, v51, v17
	v_sub_f16_e32 v18, v18, v21
	v_fmac_f16_e32 v10, -0.5, v63
	v_fmamk_f16 v51, v19, 0x3b9c, v53
	v_fmac_f16_e32 v29, 0x34f2, v36
	v_add_f16_e32 v21, v31, v20
	v_sub_f16_e32 v31, v16, v17
	v_fmamk_f16 v63, v18, 0xbb9c, v10
	v_sub_f16_e32 v16, v17, v16
	v_sub_f16_e32 v17, v20, v24
	v_fmac_f16_e32 v10, 0x3b9c, v18
	v_fmac_f16_e32 v0, 0x34f2, v36
	v_sub_f16_e32 v36, v24, v20
	v_fmac_f16_e32 v53, 0xbb9c, v19
	v_fmac_f16_e32 v63, 0x38b4, v19
	v_add_f16_e32 v16, v16, v17
	v_fmac_f16_e32 v10, 0xb8b4, v19
	v_fmac_f16_e32 v51, 0x38b4, v18
	v_add_f16_e32 v20, v31, v36
	v_fmac_f16_e32 v53, 0xb8b4, v18
	v_fmac_f16_e32 v63, 0x34f2, v16
	;; [unrolled: 1-line block ×3, first 2 shown]
	v_pack_b32_f16 v16, v22, v37
	v_pack_b32_f16 v19, v26, v52
	v_add_f16_e32 v17, v21, v24
	v_fmac_f16_e32 v51, 0x34f2, v20
	v_fmac_f16_e32 v53, 0x34f2, v20
	v_pack_b32_f16 v18, v23, v54
	v_pack_b32_f16 v20, v43, v56
	v_add_nc_u32_e32 v21, 0x300, v89
	v_pack_b32_f16 v14, v2, v14
	v_pack_b32_f16 v22, v38, v58
	v_add_nc_u32_e32 v2, 0x600, v89
	;; [unrolled: 3-line block ×3, first 2 shown]
	ds_store_2addr_b32 v89, v16, v19 offset1:39
	ds_store_2addr_b32 v21, v20, v18 offset0:42 offset1:198
	ds_store_2addr_b32 v2, v22, v14 offset0:45 offset1:201
	v_pack_b32_f16 v14, v27, v59
	v_pack_b32_f16 v18, v47, v60
	;; [unrolled: 1-line block ×3, first 2 shown]
	v_add_nc_u32_e32 v20, 0x300, v69
	v_pack_b32_f16 v4, v4, v13
	v_pack_b32_f16 v13, v49, v66
	v_add_nc_u32_e32 v21, 0x900, v69
	v_pack_b32_f16 v16, v45, v57
	v_pack_b32_f16 v22, v32, v35
	ds_store_2addr_b32 v12, v3, v1 offset0:48 offset1:204
	ds_store_b32 v89, v14 offset:3276
	ds_store_2addr_b32 v20, v18, v19 offset0:3 offset1:198
	ds_store_2addr_b32 v21, v4, v13 offset0:9 offset1:204
	;; [unrolled: 1-line block ×3, first 2 shown]
	v_pack_b32_f16 v1, v61, v48
	v_pack_b32_f16 v3, v33, v55
	v_add_nc_u32_e32 v4, 0x300, v68
	v_pack_b32_f16 v5, v5, v11
	v_pack_b32_f16 v11, v34, v65
	v_add_nc_u32_e32 v12, 0x900, v68
	v_pack_b32_f16 v15, v15, v39
	v_pack_b32_f16 v13, v28, v17
	;; [unrolled: 1-line block ×4, first 2 shown]
	v_add_nc_u32_e32 v17, 0x300, v67
	v_pack_b32_f16 v0, v0, v10
	v_pack_b32_f16 v10, v30, v53
	v_add_nc_u32_e32 v18, 0x900, v67
	ds_store_2addr_b32 v4, v1, v3 offset0:3 offset1:198
	ds_store_2addr_b32 v12, v5, v11 offset0:9 offset1:204
	;; [unrolled: 1-line block ×5, first 2 shown]
	global_wb scope:SCOPE_SE
	s_wait_dscnt 0x0
	s_barrier_signal -1
	s_barrier_wait -1
	global_inv scope:SCOPE_SE
	ds_load_2addr_b32 v[0:1], v89 offset1:75
	v_lshrrev_b32_e32 v10, 16, v113
	v_lshrrev_b32_e32 v15, 16, v111
	;; [unrolled: 1-line block ×4, first 2 shown]
	s_wait_dscnt 0x0
	v_lshrrev_b32_e32 v5, 16, v0
	s_delay_alu instid0(VALU_DEP_1) | instskip(NEXT) | instid1(VALU_DEP_1)
	v_mul_f16_e32 v3, v10, v5
	v_fmac_f16_e32 v3, v113, v0
	v_mul_f16_e32 v0, v10, v0
	s_delay_alu instid0(VALU_DEP_2) | instskip(NEXT) | instid1(VALU_DEP_2)
	v_cvt_f32_f16_e32 v3, v3
	v_fma_f16 v0, v113, v5, -v0
	s_delay_alu instid0(VALU_DEP_2) | instskip(NEXT) | instid1(VALU_DEP_2)
	v_cvt_f64_f32_e32 v[3:4], v3
	v_cvt_f32_f16_e32 v0, v0
	s_delay_alu instid0(VALU_DEP_1) | instskip(SKIP_1) | instid1(VALU_DEP_1)
	v_cvt_f64_f32_e32 v[10:11], v0
	v_lshrrev_b32_e32 v0, 16, v1
	v_mul_f16_e32 v5, v15, v0
	s_delay_alu instid0(VALU_DEP_1) | instskip(SKIP_1) | instid1(VALU_DEP_2)
	v_fmac_f16_e32 v5, v111, v1
	v_mul_f16_e32 v1, v15, v1
	v_cvt_f32_f16_e32 v5, v5
	s_delay_alu instid0(VALU_DEP_2) | instskip(NEXT) | instid1(VALU_DEP_2)
	v_fma_f16 v0, v111, v0, -v1
	v_cvt_f64_f32_e32 v[12:13], v5
	s_delay_alu instid0(VALU_DEP_2) | instskip(SKIP_3) | instid1(VALU_DEP_4)
	v_cvt_f32_f16_e32 v0, v0
	s_wait_alu 0xfffe
	v_mul_f64_e32 v[3:4], s[8:9], v[3:4]
	v_mul_f64_e32 v[10:11], s[8:9], v[10:11]
	;; [unrolled: 1-line block ×3, first 2 shown]
	s_delay_alu instid0(VALU_DEP_3) | instskip(SKIP_3) | instid1(VALU_DEP_4)
	v_and_or_b32 v3, 0x1ff, v4, v3
	v_lshrrev_b32_e32 v14, 8, v4
	v_bfe_u32 v5, v4, 20, 11
	v_lshrrev_b32_e32 v25, 16, v4
	v_cmp_ne_u32_e64 s0, 0, v3
	v_and_or_b32 v1, 0x1ff, v11, v10
	v_lshrrev_b32_e32 v15, 8, v11
	v_bfe_u32 v18, v11, 20, 11
	v_lshrrev_b32_e32 v27, 16, v11
	s_wait_alu 0xf1ff
	v_cndmask_b32_e64 v3, 0, 1, s0
	v_cmp_ne_u32_e64 s0, 0, v1
	v_cvt_f64_f32_e32 v[0:1], v0
	v_sub_nc_u32_e32 v19, 0x3f1, v18
	s_delay_alu instid0(VALU_DEP_4)
	v_and_or_b32 v17, 0xffe, v14, v3
	v_sub_nc_u32_e32 v3, 0x3f1, v5
	s_wait_alu 0xf1ff
	v_cndmask_b32_e64 v10, 0, 1, s0
	v_add_nc_u32_e32 v5, 0xfffffc10, v5
	v_med3_i32 v19, v19, 0, 13
	v_or_b32_e32 v14, 0x1000, v17
	v_med3_i32 v3, v3, 0, 13
	v_and_or_b32 v10, 0xffe, v15, v10
	s_delay_alu instid0(VALU_DEP_2) | instskip(NEXT) | instid1(VALU_DEP_2)
	v_lshrrev_b32_e32 v16, v3, v14
	v_or_b32_e32 v20, 0x1000, v10
	v_and_or_b32 v12, 0x1ff, v13, v12
	s_delay_alu instid0(VALU_DEP_3) | instskip(NEXT) | instid1(VALU_DEP_3)
	v_lshlrev_b32_e32 v3, v3, v16
	v_lshrrev_b32_e32 v22, v19, v20
	s_delay_alu instid0(VALU_DEP_2) | instskip(SKIP_1) | instid1(VALU_DEP_3)
	v_cmp_ne_u32_e64 s0, v3, v14
	v_mad_co_u64_u32 v[14:15], null, s6, v44, 0
	v_lshlrev_b32_e32 v19, v19, v22
	s_wait_alu 0xf1ff
	s_delay_alu instid0(VALU_DEP_3) | instskip(SKIP_1) | instid1(VALU_DEP_3)
	v_cndmask_b32_e64 v3, 0, 1, s0
	v_cmp_gt_i32_e64 s0, 1, v5
	v_cmp_ne_u32_e64 s2, v19, v20
	v_add_nc_u32_e32 v20, 0xfffffc10, v18
	s_delay_alu instid0(VALU_DEP_4)
	v_or_b32_e32 v3, v16, v3
	v_lshl_or_b32 v16, v5, 12, v17
	s_wait_alu 0xf1ff
	v_cndmask_b32_e64 v19, 0, 1, s2
	v_mul_f64_e32 v[0:1], s[8:9], v[0:1]
	v_cmp_ne_u32_e64 s2, 0, v12
	v_cndmask_b32_e64 v21, v16, v3, s0
	v_mov_b32_e32 v3, v15
	ds_load_2addr_b32 v[15:16], v89 offset0:150 offset1:225
	v_or_b32_e32 v19, v22, v19
	s_wait_alu 0xf1ff
	v_cndmask_b32_e64 v12, 0, 1, s2
	v_and_b32_e32 v23, 7, v21
	v_lshrrev_b32_e32 v21, 2, v21
	s_delay_alu instid0(VALU_DEP_2) | instskip(SKIP_1) | instid1(VALU_DEP_1)
	v_cmp_lt_i32_e64 s0, 5, v23
	v_cmp_eq_u32_e64 s1, 3, v23
	s_or_b32 s0, s1, s0
	s_wait_alu 0xfffe
	v_add_co_ci_u32_e64 v18, s0, 0, v21, s0
	v_cmp_ne_u32_e64 s0, 0, v17
	v_lshl_or_b32 v21, v20, 12, v10
	s_wait_dscnt 0x0
	v_lshrrev_b32_e32 v23, 16, v15
	s_wait_alu 0xf1ff
	v_cndmask_b32_e64 v17, 0, 1, s0
	v_cmp_gt_i32_e64 s0, 31, v5
	s_wait_alu 0xf1ff
	s_delay_alu instid0(VALU_DEP_1) | instskip(SKIP_3) | instid1(VALU_DEP_2)
	v_cndmask_b32_e64 v22, 0x7c00, v18, s0
	v_cmp_gt_i32_e64 s0, 1, v20
	v_and_or_b32 v0, 0x1ff, v1, v0
	s_wait_alu 0xf1ff
	v_cndmask_b32_e64 v19, v21, v19, s0
	v_cmp_eq_u32_e64 s0, 0x40f, v5
	v_mul_f16_e32 v5, v28, v23
	v_lshl_or_b32 v21, v17, 9, 0x7c00
	v_mad_co_u64_u32 v[17:18], null, s7, v44, v[3:4]
	v_and_b32_e32 v3, 7, v19
	s_delay_alu instid0(VALU_DEP_4)
	v_fmac_f16_e32 v5, v109, v15
	s_wait_alu 0xf1ff
	v_cndmask_b32_e64 v21, v22, v21, s0
	v_lshrrev_b32_e32 v18, 8, v13
	v_bfe_u32 v22, v13, 20, 11
	v_cmp_lt_i32_e64 s0, 5, v3
	v_cmp_eq_u32_e64 s1, 3, v3
	v_lshrrev_b32_e32 v3, 2, v19
	v_cvt_f32_f16_e32 v5, v5
	v_and_or_b32 v12, 0xffe, v18, v12
	v_sub_nc_u32_e32 v24, 0x3f1, v22
	s_or_b32 s0, s1, s0
	v_lshrrev_b32_e32 v11, 8, v1
	s_wait_alu 0xfffe
	v_add_co_ci_u32_e64 v3, s0, 0, v3, s0
	v_cvt_f64_f32_e32 v[18:19], v5
	v_cmp_ne_u32_e64 s0, 0, v10
	v_or_b32_e32 v10, 0x1000, v12
	v_med3_i32 v24, v24, 0, 13
	v_mul_f16_e32 v15, v28, v15
	v_add_nc_u32_e32 v22, 0xfffffc10, v22
	s_wait_alu 0xf1ff
	v_cndmask_b32_e64 v5, 0, 1, s0
	v_cmp_gt_i32_e64 s0, 31, v20
	v_lshrrev_b32_e32 v26, v24, v10
	v_lshrrev_b32_e32 v13, 16, v13
	v_lshl_or_b32 v29, v22, 12, v12
	v_lshl_or_b32 v5, v5, 9, 0x7c00
	s_wait_alu 0xf1ff
	v_cndmask_b32_e64 v3, 0x7c00, v3, s0
	v_cmp_eq_u32_e64 s0, 0x40f, v20
	s_mul_u64 s[6:7], s[4:5], 0x4b
	s_wait_alu 0xfffe
	s_lshl_b64 s[6:7], s[6:7], 2
	s_delay_alu instid0(VALU_DEP_1)
	v_cndmask_b32_e64 v20, v3, v5, s0
	v_cmp_ne_u32_e64 s0, 0, v0
	v_lshlrev_b32_e32 v5, v24, v26
	v_bfe_u32 v24, v1, 20, 11
	v_mad_co_u64_u32 v[3:4], null, s4, v42, 0
	s_wait_alu 0xf1ff
	v_cndmask_b32_e64 v0, 0, 1, s0
	v_cmp_ne_u32_e64 s0, v5, v10
	v_and_or_b32 v20, 0x8000, v27, v20
	s_delay_alu instid0(VALU_DEP_3)
	v_and_or_b32 v28, 0xffe, v11, v0
	v_fma_f16 v0, v109, v23, -v15
	v_sub_nc_u32_e32 v11, 0x3f1, v24
	s_wait_alu 0xf1ff
	v_cndmask_b32_e64 v5, 0, 1, s0
	v_cmp_gt_i32_e64 s0, 1, v22
	v_or_b32_e32 v23, 0x1000, v28
	v_cvt_f32_f16_e32 v10, v0
	v_med3_i32 v15, v11, 0, 13
	v_mov_b32_e32 v0, v4
	v_or_b32_e32 v26, v26, v5
	v_mul_f64_e32 v[18:19], s[8:9], v[18:19]
	v_cvt_f64_f32_e32 v[10:11], v10
	v_lshrrev_b32_e32 v30, v15, v23
	v_mad_co_u64_u32 v[4:5], null, s5, v42, v[0:1]
	s_wait_alu 0xf1ff
	v_cndmask_b32_e64 v0, v29, v26, s0
	s_delay_alu instid0(VALU_DEP_3) | instskip(SKIP_2) | instid1(VALU_DEP_4)
	v_lshlrev_b32_e32 v5, v15, v30
	v_mov_b32_e32 v15, v17
	v_and_or_b32 v17, 0x8000, v25, v21
	v_and_b32_e32 v21, 7, v0
	v_lshrrev_b32_e32 v0, 2, v0
	v_cmp_ne_u32_e64 s0, v5, v23
	v_add_nc_u32_e32 v23, 0xfffffc10, v24
	v_and_b32_e32 v17, 0xffff, v17
	v_cmp_eq_u32_e64 s1, 3, v21
	v_lshlrev_b64_e32 v[14:15], 2, v[14:15]
	s_wait_alu 0xf1ff
	v_cndmask_b32_e64 v5, 0, 1, s0
	v_cmp_lt_i32_e64 s0, 5, v21
	v_lshl_or_b32 v24, v23, 12, v28
	v_cmp_gt_i32_e64 s2, 1, v23
	v_lshl_or_b32 v20, v20, 16, v17
	v_or_b32_e32 v5, v30, v5
	s_or_b32 s0, s1, s0
	v_lshrrev_b32_e32 v21, 16, v16
	s_wait_alu 0xfffe
	v_add_co_ci_u32_e64 v0, s0, 0, v0, s0
	v_cmp_ne_u32_e64 s0, 0, v12
	v_cndmask_b32_e64 v5, v24, v5, s2
	v_cmp_eq_u32_e64 s2, 0x40f, v22
	v_lshrrev_b32_e32 v30, 16, v107
	s_wait_alu 0xf1ff
	v_cndmask_b32_e64 v12, 0, 1, s0
	v_cmp_gt_i32_e64 s0, 31, v22
	v_and_b32_e32 v17, 7, v5
	s_delay_alu instid0(VALU_DEP_3) | instskip(SKIP_1) | instid1(VALU_DEP_3)
	v_lshl_or_b32 v12, v12, 9, 0x7c00
	s_wait_alu 0xf1ff
	v_cndmask_b32_e64 v0, 0x7c00, v0, s0
	s_delay_alu instid0(VALU_DEP_3)
	v_cmp_lt_i32_e64 s0, 5, v17
	v_cmp_eq_u32_e64 s1, 3, v17
	v_mul_f64_e32 v[10:11], s[8:9], v[10:11]
	v_mul_f16_e32 v17, v30, v21
	v_cndmask_b32_e64 v12, v0, v12, s2
	v_lshrrev_b32_e32 v0, 2, v5
	v_and_or_b32 v5, 0x1ff, v19, v18
	s_or_b32 s0, s1, s0
	v_fmac_f16_e32 v17, v107, v16
	v_lshrrev_b32_e32 v18, 8, v19
	s_wait_alu 0xfffe
	v_add_co_ci_u32_e64 v0, s0, 0, v0, s0
	v_cmp_ne_u32_e64 s0, 0, v5
	v_bfe_u32 v22, v19, 20, 11
	v_cvt_f32_f16_e32 v17, v17
	v_and_or_b32 v12, 0x8000, v13, v12
	v_mul_f16_e32 v13, v30, v16
	s_wait_alu 0xf1ff
	v_cndmask_b32_e64 v5, 0, 1, s0
	v_cmp_ne_u32_e64 s0, 0, v28
	v_sub_nc_u32_e32 v25, 0x3f1, v22
	v_lshrrev_b32_e32 v19, 16, v19
	v_fma_f16 v13, v107, v21, -v13
	v_and_or_b32 v5, 0xffe, v18, v5
	s_wait_alu 0xf1ff
	v_cndmask_b32_e64 v24, 0, 1, s0
	v_cmp_gt_i32_e64 s0, 31, v23
	v_cvt_f64_f32_e32 v[17:18], v17
	v_med3_i32 v25, v25, 0, 13
	v_or_b32_e32 v26, 0x1000, v5
	v_lshl_or_b32 v24, v24, 9, 0x7c00
	s_wait_alu 0xf1ff
	v_cndmask_b32_e64 v0, 0x7c00, v0, s0
	v_cmp_eq_u32_e64 s0, 0x40f, v23
	v_cvt_f32_f16_e32 v13, v13
	v_lshrrev_b32_e32 v27, v25, v26
	v_lshrrev_b32_e32 v30, 16, v100
	s_wait_alu 0xf1ff
	v_cndmask_b32_e64 v23, v0, v24, s0
	v_add_co_u32 v28, s0, s10, v14
	v_lshlrev_b32_e32 v14, v25, v27
	s_wait_alu 0xf1ff
	v_add_co_ci_u32_e64 v29, s0, s11, v15, s0
	v_lshrrev_b32_e32 v24, 16, v1
	v_lshlrev_b64_e32 v[0:1], 2, v[3:4]
	v_and_or_b32 v3, 0x1ff, v11, v10
	v_cmp_ne_u32_e64 s0, v14, v26
	v_add_nc_u32_e32 v10, 0xfffffc10, v22
	v_lshrrev_b32_e32 v14, 8, v11
	v_bfe_u32 v16, v11, 20, 11
	v_and_b32_e32 v26, 0xffff, v12
	s_wait_alu 0xf1ff
	v_cndmask_b32_e64 v4, 0, 1, s0
	v_cmp_ne_u32_e64 s0, 0, v3
	v_lshl_or_b32 v15, v10, 12, v5
	v_and_or_b32 v23, 0x8000, v24, v23
	s_delay_alu instid0(VALU_DEP_4)
	v_or_b32_e32 v4, v27, v4
	s_wait_alu 0xf1ff
	v_cndmask_b32_e64 v3, 0, 1, s0
	v_cmp_gt_i32_e64 s0, 1, v10
	v_lshrrev_b32_e32 v27, 16, v105
	v_lshl_or_b32 v23, v23, 16, v26
	s_delay_alu instid0(VALU_DEP_4)
	v_and_or_b32 v21, 0xffe, v14, v3
	v_sub_nc_u32_e32 v3, 0x3f1, v16
	s_wait_alu 0xf1ff
	v_cndmask_b32_e64 v22, v15, v4, s0
	v_add_co_u32 v0, s0, v28, v0
	v_or_b32_e32 v24, 0x1000, v21
	v_med3_i32 v25, v3, 0, 13
	v_cvt_f64_f32_e32 v[3:4], v13
	v_mul_f64_e32 v[12:13], s[8:9], v[17:18]
	v_and_b32_e32 v17, 7, v22
	ds_load_2addr_b32 v[14:15], v8 offset0:44 offset1:119
	v_lshrrev_b32_e32 v18, v25, v24
	s_wait_alu 0xf1ff
	v_add_co_ci_u32_e64 v1, s0, v29, v1, s0
	v_cmp_lt_i32_e64 s0, 5, v17
	v_cmp_eq_u32_e64 s1, 3, v17
	v_lshlrev_b32_e32 v25, v25, v18
	v_lshrrev_b32_e32 v17, 2, v22
	v_lshrrev_b32_e32 v29, 16, v101
	s_delay_alu instid0(VALU_DEP_4) | instskip(NEXT) | instid1(VALU_DEP_3)
	s_or_b32 s0, s1, s0
	v_cmp_ne_u32_e64 s2, v25, v24
	v_add_nc_u32_e32 v24, 0xfffffc10, v16
	s_wait_alu 0xfffe
	v_add_co_ci_u32_e64 v16, s0, 0, v17, s0
	v_cmp_ne_u32_e64 s0, 0, v5
	s_wait_alu 0xf1ff
	v_cndmask_b32_e64 v22, 0, 1, s2
	s_delay_alu instid0(VALU_DEP_2) | instskip(SKIP_1) | instid1(VALU_DEP_3)
	v_cndmask_b32_e64 v5, 0, 1, s0
	v_cmp_gt_i32_e64 s0, 31, v10
	v_or_b32_e32 v17, v18, v22
	v_lshl_or_b32 v18, v24, 12, v21
	s_wait_dscnt 0x0
	v_lshrrev_b32_e32 v22, 16, v14
	v_lshl_or_b32 v5, v5, 9, 0x7c00
	s_wait_alu 0xf1ff
	v_cndmask_b32_e64 v16, 0x7c00, v16, s0
	v_cmp_gt_i32_e64 s0, 1, v24
	s_wait_alu 0xf1ff
	s_delay_alu instid0(VALU_DEP_1)
	v_cndmask_b32_e64 v17, v18, v17, s0
	v_mul_f16_e32 v18, v27, v22
	v_cmp_eq_u32_e64 s0, 0x40f, v10
	v_mul_f64_e32 v[3:4], s[8:9], v[3:4]
	v_and_or_b32 v12, 0x1ff, v13, v12
	v_and_b32_e32 v10, 7, v17
	v_fmac_f16_e32 v18, v105, v14
	s_wait_alu 0xf1ff
	v_cndmask_b32_e64 v5, v16, v5, s0
	v_bfe_u32 v25, v13, 20, 11
	v_cmp_ne_u32_e64 s2, 0, v12
	v_cmp_lt_i32_e64 s0, 5, v10
	v_cvt_f32_f16_e32 v16, v18
	v_cmp_eq_u32_e64 s1, 3, v10
	v_lshrrev_b32_e32 v10, 2, v17
	s_wait_alu 0xf1ff
	v_cndmask_b32_e64 v12, 0, 1, s2
	v_lshrrev_b32_e32 v18, 8, v13
	v_cvt_f64_f32_e32 v[16:17], v16
	s_or_b32 s0, s1, s0
	v_mul_f16_e32 v14, v27, v14
	s_wait_alu 0xfffe
	v_add_co_ci_u32_e64 v10, s0, 0, v10, s0
	v_and_or_b32 v12, 0xffe, v18, v12
	v_sub_nc_u32_e32 v18, 0x3f1, v25
	v_cmp_ne_u32_e64 s0, 0, v21
	v_fma_f16 v14, v105, v22, -v14
	v_and_or_b32 v5, 0x8000, v19, v5
	v_or_b32_e32 v26, 0x1000, v12
	v_med3_i32 v18, v18, 0, 13
	s_wait_alu 0xf1ff
	v_cndmask_b32_e64 v21, 0, 1, s0
	v_cmp_gt_i32_e64 s0, 31, v24
	v_cvt_f32_f16_e32 v14, v14
	v_and_b32_e32 v5, 0xffff, v5
	v_lshrrev_b32_e32 v27, v18, v26
	v_lshl_or_b32 v21, v21, 9, 0x7c00
	s_wait_alu 0xf1ff
	v_cndmask_b32_e64 v10, 0x7c00, v10, s0
	v_cmp_eq_u32_e64 s0, 0x40f, v24
	v_lshrrev_b32_e32 v24, 16, v11
	v_lshlrev_b32_e32 v18, v18, v27
	s_wait_alu 0xf1ff
	s_delay_alu instid0(VALU_DEP_3)
	v_cndmask_b32_e64 v21, v10, v21, s0
	v_add_co_u32 v10, s0, v0, s6
	s_wait_alu 0xf1ff
	v_add_co_ci_u32_e64 v11, s0, s7, v1, s0
	v_and_or_b32 v3, 0x1ff, v4, v3
	v_cmp_ne_u32_e64 s0, v18, v26
	v_cvt_f64_f32_e32 v[18:19], v14
	v_and_or_b32 v21, 0x8000, v24, v21
	v_add_nc_u32_e32 v24, 0xfffffc10, v25
	v_lshrrev_b32_e32 v14, 8, v4
	s_wait_alu 0xf1ff
	v_cndmask_b32_e64 v22, 0, 1, s0
	v_cmp_ne_u32_e64 s0, 0, v3
	v_bfe_u32 v25, v4, 20, 11
	v_mul_f64_e32 v[16:17], s[8:9], v[16:17]
	v_lshl_or_b32 v26, v24, 12, v12
	v_or_b32_e32 v22, v27, v22
	s_wait_alu 0xf1ff
	v_cndmask_b32_e64 v3, 0, 1, s0
	v_cmp_gt_i32_e64 s0, 1, v24
	v_lshl_or_b32 v5, v21, 16, v5
	s_clause 0x1
	global_store_b32 v[0:1], v20, off
	global_store_b32 v[10:11], v23, off
	v_lshrrev_b32_e32 v27, 16, v103
	v_and_or_b32 v3, 0xffe, v14, v3
	v_sub_nc_u32_e32 v14, 0x3f1, v25
	s_wait_alu 0xf1ff
	v_cndmask_b32_e64 v22, v26, v22, s0
	v_add_co_u32 v0, s0, v10, s6
	v_or_b32_e32 v26, 0x1000, v3
	v_med3_i32 v14, v14, 0, 13
	s_delay_alu instid0(VALU_DEP_4)
	v_and_b32_e32 v20, 7, v22
	s_wait_alu 0xf1ff
	v_add_co_ci_u32_e64 v1, s0, s7, v11, s0
	v_lshrrev_b32_e32 v11, 2, v22
	v_lshrrev_b32_e32 v21, v14, v26
	v_cmp_lt_i32_e64 s0, 5, v20
	v_cmp_eq_u32_e64 s1, 3, v20
	v_add_nc_u32_e32 v20, 0xfffffc10, v25
	v_lshrrev_b32_e32 v4, 16, v4
	v_lshlrev_b32_e32 v10, v14, v21
	v_lshrrev_b32_e32 v14, 16, v15
	s_or_b32 s0, s1, s0
	v_lshl_or_b32 v25, v20, 12, v3
	s_wait_alu 0xfffe
	v_add_co_ci_u32_e64 v23, s0, 0, v11, s0
	v_cmp_ne_u32_e64 s2, v10, v26
	v_cmp_gt_i32_e64 s0, 31, v24
	v_mul_f16_e32 v22, v27, v14
	global_store_b32 v[0:1], v5, off
	s_wait_alu 0xf1ff
	v_cndmask_b32_e64 v10, 0, 1, s2
	v_cndmask_b32_e64 v23, 0x7c00, v23, s0
	v_cmp_gt_i32_e64 s0, 1, v20
	v_fmac_f16_e32 v22, v103, v15
	v_and_or_b32 v16, 0x1ff, v17, v16
	v_or_b32_e32 v21, v21, v10
	v_mul_f64_e32 v[10:11], s[8:9], v[18:19]
	v_bfe_u32 v26, v17, 20, 11
	v_cvt_f32_f16_e32 v18, v22
	v_cmp_eq_u32_e64 s2, 0x40f, v24
	s_wait_alu 0xf1ff
	v_cndmask_b32_e64 v21, v25, v21, s0
	v_cmp_ne_u32_e64 s0, 0, v12
	v_lshrrev_b32_e32 v25, 8, v17
	v_cvt_f64_f32_e32 v[18:19], v18
	v_mul_f16_e32 v15, v27, v15
	v_and_b32_e32 v22, 7, v21
	s_wait_alu 0xf1ff
	v_cndmask_b32_e64 v12, 0, 1, s0
	v_cmp_ne_u32_e64 s0, 0, v16
	v_lshrrev_b32_e32 v17, 16, v17
	v_cmp_eq_u32_e64 s1, 3, v22
	s_delay_alu instid0(VALU_DEP_4)
	v_lshl_or_b32 v12, v12, 9, 0x7c00
	s_wait_alu 0xf1ff
	v_cndmask_b32_e64 v16, 0, 1, s0
	v_cmp_lt_i32_e64 s0, 5, v22
	v_sub_nc_u32_e32 v22, 0x3f1, v26
	v_cndmask_b32_e64 v23, v23, v12, s2
	s_delay_alu instid0(VALU_DEP_4) | instskip(SKIP_1) | instid1(VALU_DEP_4)
	v_and_or_b32 v16, 0xffe, v25, v16
	v_lshrrev_b32_e32 v12, 2, v21
	v_med3_i32 v22, v22, 0, 13
	s_or_b32 s0, s1, s0
	v_lshrrev_b32_e32 v25, 16, v13
	v_or_b32_e32 v21, 0x1000, v16
	s_wait_alu 0xfffe
	v_add_co_ci_u32_e64 v12, s0, 0, v12, s0
	v_cmp_gt_i32_e64 s0, 31, v20
	v_and_or_b32 v23, 0x8000, v25, v23
	v_lshrrev_b32_e32 v24, v22, v21
	s_wait_alu 0xf1ff
	s_delay_alu instid0(VALU_DEP_3) | instskip(SKIP_1) | instid1(VALU_DEP_3)
	v_cndmask_b32_e64 v27, 0x7c00, v12, s0
	v_cmp_ne_u32_e64 s0, 0, v3
	v_lshlrev_b32_e32 v13, v22, v24
	v_fma_f16 v12, v103, v14, -v15
	v_and_or_b32 v10, 0x1ff, v11, v10
	v_lshrrev_b32_e32 v22, 8, v11
	s_wait_alu 0xf1ff
	v_cndmask_b32_e64 v3, 0, 1, s0
	v_cmp_ne_u32_e64 s0, v13, v21
	v_cvt_f32_f16_e32 v12, v12
	v_add_nc_u32_e32 v21, 0xfffffc10, v26
	v_bfe_u32 v26, v11, 20, 11
	v_lshl_or_b32 v3, v3, 9, 0x7c00
	s_wait_alu 0xf1ff
	v_cndmask_b32_e64 v14, 0, 1, s0
	v_cmp_ne_u32_e64 s0, 0, v10
	v_cvt_f64_f32_e32 v[12:13], v12
	v_and_b32_e32 v23, 0xffff, v23
	s_delay_alu instid0(VALU_DEP_4)
	v_or_b32_e32 v24, v24, v14
	s_wait_alu 0xf1ff
	v_cndmask_b32_e64 v10, 0, 1, s0
	v_mul_f64_e32 v[14:15], s[8:9], v[18:19]
	v_lshl_or_b32 v18, v21, 12, v16
	v_sub_nc_u32_e32 v19, 0x3f1, v26
	v_cmp_gt_i32_e64 s0, 1, v21
	v_and_or_b32 v10, 0xffe, v22, v10
	s_delay_alu instid0(VALU_DEP_3) | instskip(SKIP_1) | instid1(VALU_DEP_3)
	v_med3_i32 v28, v19, 0, 13
	s_wait_alu 0xf1ff
	v_cndmask_b32_e64 v22, v18, v24, s0
	s_delay_alu instid0(VALU_DEP_3)
	v_or_b32_e32 v24, 0x1000, v10
	ds_load_2addr_b32 v[18:19], v2 offset0:66 offset1:141
	v_cmp_eq_u32_e64 s0, 0x40f, v20
	v_and_b32_e32 v25, 7, v22
	v_lshrrev_b32_e32 v20, v28, v24
	s_wait_alu 0xf1ff
	s_delay_alu instid0(VALU_DEP_3) | instskip(NEXT) | instid1(VALU_DEP_3)
	v_cndmask_b32_e64 v3, v27, v3, s0
	v_cmp_lt_i32_e64 s0, 5, v25
	v_cmp_eq_u32_e64 s1, 3, v25
	s_delay_alu instid0(VALU_DEP_3) | instskip(SKIP_2) | instid1(VALU_DEP_4)
	v_and_or_b32 v5, 0x8000, v4, v3
	v_lshlrev_b32_e32 v3, v28, v20
	v_lshrrev_b32_e32 v4, 2, v22
	s_or_b32 s0, s1, s0
	v_add_nc_u32_e32 v22, 0xfffffc10, v26
	v_lshl_or_b32 v5, v5, 16, v23
	v_cmp_ne_u32_e64 s2, v3, v24
	s_wait_alu 0xfffe
	v_add_co_ci_u32_e64 v24, s0, 0, v4, s0
	s_wait_dscnt 0x0
	v_lshrrev_b32_e32 v25, 16, v18
	v_cmp_ne_u32_e64 s0, 0, v16
	s_wait_alu 0xf1ff
	v_cndmask_b32_e64 v3, 0, 1, s2
	v_lshl_or_b32 v26, v22, 12, v10
	v_cmp_eq_u32_e64 s2, 0x40f, v21
	v_cndmask_b32_e64 v16, 0, 1, s0
	s_delay_alu instid0(VALU_DEP_4)
	v_or_b32_e32 v20, v20, v3
	v_mul_f64_e32 v[3:4], s[8:9], v[12:13]
	v_mul_f16_e32 v12, v29, v25
	v_cmp_gt_i32_e64 s0, 1, v22
	v_and_or_b32 v13, 0x1ff, v15, v14
	v_lshl_or_b32 v16, v16, 9, 0x7c00
	v_lshrrev_b32_e32 v27, 8, v15
	v_fmac_f16_e32 v12, v101, v18
	s_wait_alu 0xf1ff
	v_cndmask_b32_e64 v20, v26, v20, s0
	v_cmp_gt_i32_e64 s0, 31, v21
	v_bfe_u32 v28, v15, 20, 11
	v_lshrrev_b32_e32 v15, 16, v15
	v_cvt_f32_f16_e32 v12, v12
	s_wait_alu 0xf1ff
	v_cndmask_b32_e64 v14, 0x7c00, v24, s0
	v_and_b32_e32 v24, 7, v20
	v_cmp_ne_u32_e64 s0, 0, v13
	v_cvt_f64_f32_e32 v[12:13], v12
	s_delay_alu instid0(VALU_DEP_4) | instskip(NEXT) | instid1(VALU_DEP_4)
	v_cndmask_b32_e64 v14, v14, v16, s2
	v_cmp_eq_u32_e64 s1, 3, v24
	s_wait_alu 0xf1ff
	v_cndmask_b32_e64 v26, 0, 1, s0
	v_cmp_lt_i32_e64 s0, 5, v24
	v_lshrrev_b32_e32 v16, 2, v20
	v_and_or_b32 v14, 0x8000, v17, v14
	s_delay_alu instid0(VALU_DEP_4) | instskip(NEXT) | instid1(VALU_DEP_4)
	v_and_or_b32 v24, 0xffe, v27, v26
	s_or_b32 s0, s1, s0
	v_sub_nc_u32_e32 v26, 0x3f1, v28
	s_wait_alu 0xfffe
	v_add_co_ci_u32_e64 v16, s0, 0, v16, s0
	v_cmp_ne_u32_e64 s0, 0, v10
	v_or_b32_e32 v20, 0x1000, v24
	v_med3_i32 v21, v26, 0, 13
	v_and_b32_e32 v14, 0xffff, v14
	s_wait_alu 0xf1ff
	v_cndmask_b32_e64 v10, 0, 1, s0
	v_cmp_gt_i32_e64 s0, 31, v22
	v_lshrrev_b32_e32 v26, v21, v20
	v_and_or_b32 v3, 0x1ff, v4, v3
	s_delay_alu instid0(VALU_DEP_4)
	v_lshl_or_b32 v10, v10, 9, 0x7c00
	s_wait_alu 0xf1ff
	v_cndmask_b32_e64 v16, 0x7c00, v16, s0
	v_cmp_eq_u32_e64 s0, 0x40f, v22
	v_lshlrev_b32_e32 v17, v21, v26
	v_lshrrev_b32_e32 v21, 16, v11
	v_add_nc_u32_e32 v22, 0xfffffc10, v28
	s_wait_alu 0xf1ff
	v_cndmask_b32_e64 v16, v16, v10, s0
	v_mul_f16_e32 v10, v29, v18
	v_cmp_ne_u32_e64 s0, v17, v20
	v_lshrrev_b32_e32 v17, 8, v4
	v_bfe_u32 v18, v4, 20, 11
	v_and_or_b32 v16, 0x8000, v21, v16
	v_fma_f16 v10, v101, v25, -v10
	s_wait_alu 0xf1ff
	v_cndmask_b32_e64 v11, 0, 1, s0
	v_cmp_ne_u32_e64 s0, 0, v3
	v_lshl_or_b32 v25, v22, 12, v24
	v_cvt_f32_f16_e32 v23, v10
	s_delay_alu instid0(VALU_DEP_4)
	v_or_b32_e32 v20, v26, v11
	s_wait_alu 0xf1ff
	v_cndmask_b32_e64 v3, 0, 1, s0
	v_mul_f64_e32 v[10:11], s[8:9], v[12:13]
	v_cmp_gt_i32_e64 s0, 1, v22
	v_cvt_f64_f32_e32 v[12:13], v23
	s_delay_alu instid0(VALU_DEP_4)
	v_and_or_b32 v3, 0xffe, v17, v3
	v_sub_nc_u32_e32 v17, 0x3f1, v18
	s_wait_alu 0xf1ff
	v_cndmask_b32_e64 v20, v25, v20, s0
	v_add_co_u32 v0, s0, v0, s6
	v_or_b32_e32 v23, 0x1000, v3
	v_med3_i32 v17, v17, 0, 13
	s_wait_alu 0xf1ff
	v_add_co_ci_u32_e64 v1, s0, s7, v1, s0
	v_lshl_or_b32 v25, v16, 16, v14
	v_and_b32_e32 v14, 7, v20
	v_lshrrev_b32_e32 v21, v17, v23
	v_add_co_u32 v16, s0, v0, s6
	v_add_nc_u32_e32 v18, 0xfffffc10, v18
	s_delay_alu instid0(VALU_DEP_4) | instskip(NEXT) | instid1(VALU_DEP_4)
	v_cmp_eq_u32_e64 s1, 3, v14
	v_lshlrev_b32_e32 v26, v17, v21
	s_wait_alu 0xf1ff
	v_add_co_ci_u32_e64 v17, s0, s7, v1, s0
	v_cmp_lt_i32_e64 s0, 5, v14
	v_lshrrev_b32_e32 v14, 2, v20
	v_cmp_ne_u32_e64 s2, v26, v23
	v_lshrrev_b32_e32 v23, 16, v19
	s_delay_alu instid0(VALU_DEP_4)
	s_or_b32 s0, s1, s0
	s_wait_alu 0xfffe
	v_add_co_ci_u32_e64 v14, s0, 0, v14, s0
	v_cndmask_b32_e64 v20, 0, 1, s2
	v_cmp_ne_u32_e64 s0, 0, v24
	v_mul_f16_e32 v26, v30, v23
	s_delay_alu instid0(VALU_DEP_3)
	v_or_b32_e32 v20, v21, v20
	v_lshl_or_b32 v21, v18, 12, v3
	s_wait_alu 0xf1ff
	v_cndmask_b32_e64 v24, 0, 1, s0
	v_cmp_gt_i32_e64 s0, 1, v18
	v_fmac_f16_e32 v26, v100, v19
	v_and_or_b32 v10, 0x1ff, v11, v10
	v_mul_f64_e32 v[12:13], s[8:9], v[12:13]
	v_lshl_or_b32 v24, v24, 9, 0x7c00
	s_wait_alu 0xf1ff
	v_cndmask_b32_e64 v27, v21, v20, s0
	v_cmp_gt_i32_e64 s0, 31, v22
	v_cvt_f32_f16_e32 v20, v26
	v_lshrrev_b32_e32 v28, 8, v11
	v_bfe_u32 v29, v11, 20, 11
	v_and_b32_e32 v26, 7, v27
	s_wait_alu 0xf1ff
	v_cndmask_b32_e64 v14, 0x7c00, v14, s0
	v_cmp_ne_u32_e64 s0, 0, v10
	v_cvt_f64_f32_e32 v[20:21], v20
	v_mul_f16_e32 v19, v30, v19
	v_cmp_eq_u32_e64 s1, 3, v26
	s_wait_alu 0xf1ff
	v_cndmask_b32_e64 v10, 0, 1, s0
	v_cmp_eq_u32_e64 s0, 0x40f, v22
	v_sub_nc_u32_e32 v22, 0x3f1, v29
	v_fma_f16 v19, v100, v23, -v19
	s_delay_alu instid0(VALU_DEP_4)
	v_and_or_b32 v10, 0xffe, v28, v10
	s_wait_alu 0xf1ff
	v_cndmask_b32_e64 v14, v14, v24, s0
	v_cmp_lt_i32_e64 s0, 5, v26
	v_lshrrev_b32_e32 v24, 2, v27
	v_med3_i32 v22, v22, 0, 13
	v_or_b32_e32 v26, 0x1000, v10
	v_cvt_f32_f16_e32 v19, v19
	s_or_b32 s0, s1, s0
	v_and_or_b32 v27, 0x8000, v15, v14
	s_wait_alu 0xfffe
	v_add_co_ci_u32_e64 v23, s0, 0, v24, s0
	v_cmp_ne_u32_e64 s0, 0, v3
	v_lshrrev_b32_e32 v24, v22, v26
	v_cvt_f64_f32_e32 v[14:15], v19
	s_wait_alu 0xf1ff
	s_delay_alu instid0(VALU_DEP_3) | instskip(SKIP_3) | instid1(VALU_DEP_4)
	v_cndmask_b32_e64 v3, 0, 1, s0
	v_cmp_gt_i32_e64 s0, 31, v18
	v_lshlrev_b32_e32 v19, v22, v24
	v_bfe_u32 v30, v13, 20, 11
	v_lshl_or_b32 v3, v3, 9, 0x7c00
	s_wait_alu 0xf1ff
	v_cndmask_b32_e64 v23, 0x7c00, v23, s0
	v_cmp_eq_u32_e64 s0, 0x40f, v18
	s_wait_alu 0xf1ff
	s_delay_alu instid0(VALU_DEP_1)
	v_cndmask_b32_e64 v22, v23, v3, s0
	v_and_or_b32 v3, 0x1ff, v13, v12
	v_cmp_ne_u32_e64 s0, v19, v26
	v_lshrrev_b32_e32 v12, 16, v4
	v_add_nc_u32_e32 v26, 0xfffffc10, v29
	v_lshrrev_b32_e32 v29, 8, v13
	ds_load_2addr_b32 v[18:19], v7 offset0:88 offset1:163
	s_wait_alu 0xf1ff
	v_cndmask_b32_e64 v23, 0, 1, s0
	v_cmp_ne_u32_e64 s0, 0, v3
	v_mul_f64_e32 v[3:4], s[8:9], v[20:21]
	v_and_or_b32 v12, 0x8000, v12, v22
	v_lshl_or_b32 v21, v26, 12, v10
	v_or_b32_e32 v20, v24, v23
	s_wait_alu 0xf1ff
	v_cndmask_b32_e64 v28, 0, 1, s0
	v_sub_nc_u32_e32 v23, 0x3f1, v30
	v_cmp_gt_i32_e64 s0, 1, v26
	v_and_b32_e32 v24, 0xffff, v27
	s_clause 0x1
	global_store_b32 v[0:1], v5, off
	global_store_b32 v[16:17], v25, off
	v_and_or_b32 v22, 0xffe, v29, v28
	v_med3_i32 v23, v23, 0, 13
	s_wait_alu 0xf1ff
	v_cndmask_b32_e64 v20, v21, v20, s0
	v_lshl_or_b32 v5, v12, 16, v24
	v_add_co_u32 v0, s0, v16, s6
	v_or_b32_e32 v21, 0x1000, v22
	s_delay_alu instid0(VALU_DEP_4)
	v_and_b32_e32 v12, 7, v20
	s_wait_dscnt 0x0
	v_lshrrev_b32_e32 v25, 16, v18
	v_lshrrev_b32_e32 v28, 16, v98
	s_wait_alu 0xf1ff
	v_add_co_ci_u32_e64 v1, s0, s7, v17, s0
	v_lshrrev_b32_e32 v24, v23, v21
	v_cmp_lt_i32_e64 s0, 5, v12
	v_cmp_eq_u32_e64 s1, 3, v12
	v_mul_f64_e32 v[14:15], s[8:9], v[14:15]
	v_lshrrev_b32_e32 v17, 2, v20
	v_lshlrev_b32_e32 v16, v23, v24
	v_mul_f16_e32 v12, v28, v25
	s_or_b32 s0, s1, s0
	v_add_nc_u32_e32 v20, 0xfffffc10, v30
	v_lshrrev_b32_e32 v13, 16, v13
	v_cmp_ne_u32_e64 s2, v16, v21
	s_wait_alu 0xfffe
	v_add_co_ci_u32_e64 v21, s0, 0, v17, s0
	v_fmac_f16_e32 v12, v98, v18
	v_cmp_ne_u32_e64 s0, 0, v10
	s_wait_alu 0xf1ff
	v_cndmask_b32_e64 v16, 0, 1, s2
	v_mul_f16_e32 v18, v28, v18
	v_and_or_b32 v3, 0x1ff, v4, v3
	v_cvt_f32_f16_e32 v12, v12
	v_cndmask_b32_e64 v10, 0, 1, s0
	v_or_b32_e32 v23, v24, v16
	v_lshl_or_b32 v24, v20, 12, v22
	v_cmp_gt_i32_e64 s0, 1, v20
	v_cvt_f64_f32_e32 v[16:17], v12
	v_lshl_or_b32 v10, v10, 9, 0x7c00
	v_fma_f16 v18, v98, v25, -v18
	global_store_b32 v[0:1], v5, off
	s_wait_alu 0xf1ff
	v_cndmask_b32_e64 v12, v24, v23, s0
	v_cmp_ne_u32_e64 s0, 0, v3
	v_lshrrev_b32_e32 v23, 8, v4
	v_bfe_u32 v24, v4, 20, 11
	v_cvt_f32_f16_e32 v18, v18
	v_and_b32_e32 v27, 7, v12
	s_wait_alu 0xf1ff
	v_cndmask_b32_e64 v3, 0, 1, s0
	v_cmp_gt_i32_e64 s0, 31, v26
	v_lshrrev_b32_e32 v4, 16, v4
	v_cmp_eq_u32_e64 s1, 3, v27
	s_delay_alu instid0(VALU_DEP_4)
	v_and_or_b32 v3, 0xffe, v23, v3
	s_wait_alu 0xf1ff
	v_cndmask_b32_e64 v21, 0x7c00, v21, s0
	v_sub_nc_u32_e32 v23, 0x3f1, v24
	v_cmp_eq_u32_e64 s0, 0x40f, v26
	v_lshrrev_b32_e32 v26, 16, v11
	v_lshrrev_b32_e32 v11, 2, v12
	v_and_or_b32 v14, 0x1ff, v15, v14
	v_med3_i32 v23, v23, 0, 13
	s_wait_alu 0xf1ff
	v_cndmask_b32_e64 v21, v21, v10, s0
	v_or_b32_e32 v10, 0x1000, v3
	v_cmp_lt_i32_e64 s0, 5, v27
	v_bfe_u32 v25, v15, 20, 11
	v_add_nc_u32_e32 v24, 0xfffffc10, v24
	v_and_or_b32 v5, 0x8000, v26, v21
	v_lshrrev_b32_e32 v12, v23, v10
	s_or_b32 s0, s1, s0
	v_add_nc_u32_e32 v21, 0xfffffc10, v25
	s_wait_alu 0xfffe
	v_add_co_ci_u32_e64 v27, s0, 0, v11, s0
	v_lshlrev_b32_e32 v11, v23, v12
	v_cmp_ne_u32_e64 s0, 0, v14
	v_lshrrev_b32_e32 v23, 8, v15
	v_and_b32_e32 v5, 0xffff, v5
	s_wait_alu 0xf1ff
	s_delay_alu instid0(VALU_DEP_3) | instskip(SKIP_3) | instid1(VALU_DEP_4)
	v_cndmask_b32_e64 v14, 0, 1, s0
	v_cmp_ne_u32_e64 s0, v11, v10
	v_mul_f64_e32 v[10:11], s[8:9], v[16:17]
	v_cvt_f64_f32_e32 v[16:17], v18
	v_and_or_b32 v14, 0xffe, v23, v14
	s_wait_alu 0xf1ff
	v_cndmask_b32_e64 v28, 0, 1, s0
	v_cmp_ne_u32_e64 s0, 0, v22
	v_sub_nc_u32_e32 v23, 0x3f1, v25
	v_lshl_or_b32 v22, v24, 12, v3
	s_delay_alu instid0(VALU_DEP_4)
	v_or_b32_e32 v12, v12, v28
	s_wait_alu 0xf1ff
	v_cndmask_b32_e64 v18, 0, 1, s0
	v_cmp_gt_i32_e64 s0, 31, v20
	v_or_b32_e32 v28, 0x1000, v14
	v_med3_i32 v23, v23, 0, 13
	s_delay_alu instid0(VALU_DEP_4) | instskip(SKIP_4) | instid1(VALU_DEP_1)
	v_lshl_or_b32 v18, v18, 9, 0x7c00
	s_wait_alu 0xf1ff
	v_cndmask_b32_e64 v27, 0x7c00, v27, s0
	v_cmp_gt_i32_e64 s0, 1, v24
	s_wait_alu 0xf1ff
	v_cndmask_b32_e64 v12, v22, v12, s0
	v_lshrrev_b32_e32 v22, v23, v28
	v_cmp_eq_u32_e64 s0, 0x40f, v20
	s_delay_alu instid0(VALU_DEP_3) | instskip(NEXT) | instid1(VALU_DEP_3)
	v_and_b32_e32 v20, 7, v12
	v_lshlrev_b32_e32 v23, v23, v22
	s_wait_alu 0xf1ff
	s_delay_alu instid0(VALU_DEP_3) | instskip(SKIP_3) | instid1(VALU_DEP_4)
	v_cndmask_b32_e64 v18, v27, v18, s0
	v_lshrrev_b32_e32 v12, 2, v12
	v_cmp_lt_i32_e64 s0, 5, v20
	v_cmp_ne_u32_e64 s1, v23, v28
	v_and_or_b32 v18, 0x8000, v13, v18
	v_lshrrev_b32_e32 v23, 16, v19
	v_lshrrev_b32_e32 v28, 16, v96
	s_wait_alu 0xf1ff
	v_cndmask_b32_e64 v13, 0, 1, s1
	v_cmp_eq_u32_e64 s1, 3, v20
	v_lshl_or_b32 v20, v21, 12, v14
	v_and_or_b32 v10, 0x1ff, v11, v10
	v_lshrrev_b32_e32 v25, 8, v11
	v_or_b32_e32 v13, v22, v13
	s_or_b32 s0, s1, s0
	v_bfe_u32 v26, v11, 20, 11
	s_wait_alu 0xfffe
	v_add_co_ci_u32_e64 v22, s0, 0, v12, s0
	v_cmp_ne_u32_e64 s0, 0, v3
	v_lshl_or_b32 v5, v18, 16, v5
	v_lshrrev_b32_e32 v11, 16, v11
	s_wait_alu 0xf1ff
	s_delay_alu instid0(VALU_DEP_3) | instskip(SKIP_1) | instid1(VALU_DEP_2)
	v_cndmask_b32_e64 v3, 0, 1, s0
	v_cmp_gt_i32_e64 s0, 1, v21
	v_lshl_or_b32 v3, v3, 9, 0x7c00
	s_wait_alu 0xf1ff
	s_delay_alu instid0(VALU_DEP_2) | instskip(SKIP_4) | instid1(VALU_DEP_3)
	v_cndmask_b32_e64 v20, v20, v13, s0
	v_cmp_gt_i32_e64 s0, 31, v24
	v_mul_f64_e32 v[12:13], s[8:9], v[16:17]
	v_mul_f16_e32 v17, v28, v23
	s_wait_alu 0xf1ff
	v_cndmask_b32_e64 v16, 0x7c00, v22, s0
	v_cmp_ne_u32_e64 s0, 0, v10
	s_delay_alu instid0(VALU_DEP_3)
	v_fmac_f16_e32 v17, v96, v19
	v_and_b32_e32 v22, 7, v20
	v_lshrrev_b32_e32 v20, 2, v20
	s_wait_alu 0xf1ff
	v_cndmask_b32_e64 v10, 0, 1, s0
	v_cmp_eq_u32_e64 s0, 0x40f, v24
	v_cmp_eq_u32_e64 s1, 3, v22
	v_sub_nc_u32_e32 v24, 0x3f1, v26
	s_delay_alu instid0(VALU_DEP_4)
	v_and_or_b32 v10, 0xffe, v25, v10
	s_wait_alu 0xf1ff
	v_cndmask_b32_e64 v3, v16, v3, s0
	v_cvt_f32_f16_e32 v16, v17
	v_cmp_lt_i32_e64 s0, 5, v22
	v_med3_i32 v24, v24, 0, 13
	v_or_b32_e32 v22, 0x1000, v10
	v_and_or_b32 v27, 0x8000, v4, v3
	v_cvt_f64_f32_e32 v[16:17], v16
	s_or_b32 s0, s1, s0
	v_mul_f16_e32 v3, v28, v19
	s_wait_alu 0xfffe
	v_add_co_ci_u32_e64 v20, s0, 0, v20, s0
	v_cmp_ne_u32_e64 s0, 0, v14
	v_lshrrev_b32_e32 v25, v24, v22
	v_fma_f16 v3, v96, v23, -v3
	v_add_nc_u32_e32 v23, 0xa00, v89
	s_wait_alu 0xf1ff
	v_cndmask_b32_e64 v14, 0, 1, s0
	v_cmp_gt_i32_e64 s0, 31, v21
	v_lshlrev_b32_e32 v4, v24, v25
	v_cvt_f32_f16_e32 v3, v3
	s_delay_alu instid0(VALU_DEP_4)
	v_lshl_or_b32 v14, v14, 9, 0x7c00
	s_wait_alu 0xf1ff
	v_cndmask_b32_e64 v20, 0x7c00, v20, s0
	v_cmp_eq_u32_e64 s0, 0x40f, v21
	v_and_or_b32 v12, 0x1ff, v13, v12
	v_bfe_u32 v21, v13, 20, 11
	s_wait_alu 0xf1ff
	s_delay_alu instid0(VALU_DEP_3)
	v_cndmask_b32_e64 v19, v20, v14, s0
	v_cmp_ne_u32_e64 s0, v4, v22
	v_cvt_f64_f32_e32 v[3:4], v3
	v_lshrrev_b32_e32 v20, 16, v15
	v_add_nc_u32_e32 v22, 0xfffffc10, v26
	v_lshrrev_b32_e32 v15, 8, v13
	s_wait_alu 0xf1ff
	v_cndmask_b32_e64 v14, 0, 1, s0
	v_cmp_ne_u32_e64 s0, 0, v12
	v_and_or_b32 v18, 0x8000, v20, v19
	v_and_b32_e32 v19, 0xffff, v27
	s_delay_alu instid0(VALU_DEP_4)
	v_or_b32_e32 v24, v25, v14
	s_wait_alu 0xf1ff
	v_cndmask_b32_e64 v12, 0, 1, s0
	v_lshl_or_b32 v25, v22, 12, v10
	v_cmp_gt_i32_e64 s0, 1, v22
	v_lshl_or_b32 v27, v18, 16, v19
	v_mul_f64_e32 v[16:17], s[8:9], v[16:17]
	v_and_or_b32 v12, 0xffe, v15, v12
	ds_load_2addr_b32 v[14:15], v23 offset0:110 offset1:185
	v_sub_nc_u32_e32 v23, 0x3f1, v21
	s_wait_alu 0xf1ff
	v_cndmask_b32_e64 v24, v25, v24, s0
	v_add_co_u32 v0, s0, v0, s6
	v_or_b32_e32 v25, 0x1000, v12
	v_med3_i32 v23, v23, 0, 13
	s_delay_alu instid0(VALU_DEP_4)
	v_and_b32_e32 v20, 7, v24
	s_wait_alu 0xf1ff
	v_add_co_ci_u32_e64 v1, s0, s7, v1, s0
	v_lshrrev_b32_e32 v19, 2, v24
	v_lshrrev_b32_e32 v26, v23, v25
	v_cmp_lt_i32_e64 s0, 5, v20
	v_cmp_eq_u32_e64 s1, 3, v20
	v_add_nc_u32_e32 v24, 0xfffffc10, v21
	s_delay_alu instid0(VALU_DEP_4) | instskip(NEXT) | instid1(VALU_DEP_3)
	v_lshlrev_b32_e32 v18, v23, v26
	s_or_b32 s0, s1, s0
	s_delay_alu instid0(VALU_DEP_2)
	v_lshl_or_b32 v21, v24, 12, v12
	s_wait_dscnt 0x0
	v_lshrrev_b32_e32 v23, 16, v14
	v_cmp_ne_u32_e64 s2, v18, v25
	s_wait_alu 0xfffe
	v_add_co_ci_u32_e64 v19, s0, 0, v19, s0
	v_cmp_ne_u32_e64 s0, 0, v10
	v_mul_f16_e32 v20, v31, v23
	s_wait_alu 0xf1ff
	v_cndmask_b32_e64 v18, 0, 1, s2
	v_mul_f64_e32 v[3:4], s[8:9], v[3:4]
	v_cndmask_b32_e64 v10, 0, 1, s0
	v_fmac_f16_e32 v20, v94, v14
	s_delay_alu instid0(VALU_DEP_4) | instskip(SKIP_1) | instid1(VALU_DEP_4)
	v_or_b32_e32 v18, v26, v18
	v_cmp_gt_i32_e64 s0, 1, v24
	v_lshl_or_b32 v10, v10, 9, 0x7c00
	v_and_or_b32 v16, 0x1ff, v17, v16
	s_wait_alu 0xf1ff
	s_delay_alu instid0(VALU_DEP_3) | instskip(SKIP_3) | instid1(VALU_DEP_4)
	v_cndmask_b32_e64 v25, v21, v18, s0
	v_cvt_f32_f16_e32 v18, v20
	v_cmp_gt_i32_e64 s0, 31, v22
	v_cmp_ne_u32_e64 s1, 0, v16
	v_and_b32_e32 v28, 7, v25
	v_lshrrev_b32_e32 v25, 2, v25
	s_wait_alu 0xf1ff
	v_cndmask_b32_e64 v26, 0x7c00, v19, s0
	v_cvt_f64_f32_e32 v[18:19], v18
	v_add_co_u32 v20, s0, v0, s6
	s_wait_alu 0xf1ff
	v_add_co_ci_u32_e64 v21, s0, s7, v1, s0
	v_cmp_eq_u32_e64 s0, 0x40f, v22
	v_cndmask_b32_e64 v16, 0, 1, s1
	v_cmp_eq_u32_e64 s1, 3, v28
	v_lshrrev_b32_e32 v22, 8, v17
	global_store_b32 v[0:1], v5, off
	global_store_b32 v[20:21], v27, off
	s_wait_alu 0xf1ff
	v_cndmask_b32_e64 v10, v26, v10, s0
	v_cmp_lt_i32_e64 s0, 5, v28
	v_bfe_u32 v26, v17, 20, 11
	v_and_or_b32 v16, 0xffe, v22, v16
	v_lshrrev_b32_e32 v17, 16, v17
	v_and_or_b32 v29, 0x8000, v11, v10
	s_or_b32 s0, s1, s0
	v_sub_nc_u32_e32 v22, 0x3f1, v26
	s_wait_alu 0xfffe
	v_add_co_ci_u32_e64 v25, s0, 0, v25, s0
	v_cmp_ne_u32_e64 s0, 0, v12
	v_or_b32_e32 v28, 0x1000, v16
	v_med3_i32 v22, v22, 0, 13
	v_and_or_b32 v3, 0x1ff, v4, v3
	s_wait_alu 0xf1ff
	v_cndmask_b32_e64 v12, 0, 1, s0
	v_cmp_gt_i32_e64 s0, 31, v24
	v_lshrrev_b32_e32 v30, v22, v28
	s_delay_alu instid0(VALU_DEP_3) | instskip(SKIP_1) | instid1(VALU_DEP_3)
	v_lshl_or_b32 v12, v12, 9, 0x7c00
	s_wait_alu 0xf1ff
	v_cndmask_b32_e64 v25, 0x7c00, v25, s0
	v_cmp_eq_u32_e64 s0, 0x40f, v24
	s_wait_alu 0xf1ff
	s_delay_alu instid0(VALU_DEP_1)
	v_cndmask_b32_e64 v24, v25, v12, s0
	v_cmp_ne_u32_e64 s0, 0, v3
	v_lshrrev_b32_e32 v25, 16, v13
	v_lshlrev_b32_e32 v12, v22, v30
	v_mul_f16_e32 v13, v31, v14
	v_lshrrev_b32_e32 v14, 8, v4
	s_wait_alu 0xf1ff
	v_cndmask_b32_e64 v3, 0, 1, s0
	v_bfe_u32 v22, v4, 20, 11
	v_mul_f64_e32 v[10:11], s[8:9], v[18:19]
	v_fma_f16 v13, v94, v23, -v13
	v_cmp_ne_u32_e64 s0, v12, v28
	v_and_or_b32 v3, 0xffe, v14, v3
	v_sub_nc_u32_e32 v14, 0x3f1, v22
	v_add_nc_u32_e32 v23, 0xfffffc10, v26
	v_cvt_f32_f16_e32 v13, v13
	s_wait_alu 0xf1ff
	v_cndmask_b32_e64 v12, 0, 1, s0
	v_or_b32_e32 v26, 0x1000, v3
	v_med3_i32 v14, v14, 0, 13
	v_lshl_or_b32 v19, v23, 12, v16
	v_and_or_b32 v24, 0x8000, v25, v24
	v_or_b32_e32 v18, v30, v12
	v_cvt_f64_f32_e32 v[12:13], v13
	v_and_b32_e32 v25, 0xffff, v29
	v_cmp_gt_i32_e64 s0, 1, v23
	v_lshrrev_b32_e32 v29, v14, v26
	v_lshrrev_b32_e32 v30, 16, v91
	v_cmp_eq_u32_e64 s2, 0x40f, v23
	v_lshl_or_b32 v5, v24, 16, v25
	s_wait_alu 0xf1ff
	v_cndmask_b32_e64 v28, v19, v18, s0
	v_lshlrev_b32_e32 v1, v14, v29
	v_add_co_u32 v18, s0, v20, s6
	v_lshrrev_b32_e32 v14, 16, v15
	s_delay_alu instid0(VALU_DEP_4) | instskip(NEXT) | instid1(VALU_DEP_4)
	v_and_b32_e32 v0, 7, v28
	v_cmp_ne_u32_e64 s1, v1, v26
	s_wait_alu 0xf1ff
	v_add_co_ci_u32_e64 v19, s0, s7, v21, s0
	v_add_nc_u32_e32 v20, 0xfffffc10, v22
	v_cmp_lt_i32_e64 s0, 5, v0
	v_cndmask_b32_e64 v1, 0, 1, s1
	v_cmp_eq_u32_e64 s1, 3, v0
	v_lshrrev_b32_e32 v0, 2, v28
	v_mul_f16_e32 v21, v30, v14
	v_lshl_or_b32 v22, v20, 12, v3
	v_or_b32_e32 v1, v29, v1
	s_or_b32 s0, s1, s0
	v_and_or_b32 v10, 0x1ff, v11, v10
	s_wait_alu 0xfffe
	v_add_co_ci_u32_e64 v24, s0, 0, v0, s0
	v_fmac_f16_e32 v21, v91, v15
	v_cmp_gt_i32_e64 s0, 1, v20
	v_bfe_u32 v25, v11, 20, 11
	v_mul_f16_e32 v15, v30, v15
	v_lshrrev_b32_e32 v4, 16, v4
	v_cvt_f32_f16_e32 v0, v21
	s_wait_alu 0xf1ff
	v_cndmask_b32_e64 v21, v22, v1, s0
	v_cmp_ne_u32_e64 s0, 0, v10
	v_lshrrev_b32_e32 v22, 8, v11
	v_fma_f16 v14, v91, v14, -v15
	v_cvt_f64_f32_e32 v[0:1], v0
	v_mul_f64_e32 v[12:13], s[8:9], v[12:13]
	s_wait_alu 0xf1ff
	v_cndmask_b32_e64 v10, 0, 1, s0
	v_cmp_ne_u32_e64 s0, 0, v16
	v_and_b32_e32 v26, 7, v21
	v_lshrrev_b32_e32 v21, 2, v21
	v_cvt_f32_f16_e32 v14, v14
	v_and_or_b32 v10, 0xffe, v22, v10
	s_wait_alu 0xf1ff
	v_cndmask_b32_e64 v16, 0, 1, s0
	v_cmp_gt_i32_e64 s0, 31, v23
	v_sub_nc_u32_e32 v22, 0x3f1, v25
	v_cmp_eq_u32_e64 s1, 3, v26
	v_or_b32_e32 v27, 0x1000, v10
	v_lshl_or_b32 v16, v16, 9, 0x7c00
	s_wait_alu 0xf1ff
	v_cndmask_b32_e64 v24, 0x7c00, v24, s0
	v_cmp_lt_i32_e64 s0, 5, v26
	v_med3_i32 v22, v22, 0, 13
	s_delay_alu instid0(VALU_DEP_3) | instskip(NEXT) | instid1(VALU_DEP_3)
	v_cndmask_b32_e64 v16, v24, v16, s2
	s_or_b32 s0, s1, s0
	s_delay_alu instid0(VALU_DEP_2)
	v_lshrrev_b32_e32 v23, v22, v27
	s_wait_alu 0xfffe
	v_add_co_ci_u32_e64 v21, s0, 0, v21, s0
	v_cmp_ne_u32_e64 s0, 0, v3
	v_and_or_b32 v16, 0x8000, v17, v16
	v_lshlrev_b32_e32 v22, v22, v23
	s_wait_alu 0xf1ff
	s_delay_alu instid0(VALU_DEP_3) | instskip(SKIP_2) | instid1(VALU_DEP_3)
	v_cndmask_b32_e64 v3, 0, 1, s0
	v_cmp_gt_i32_e64 s0, 31, v20
	v_and_b32_e32 v16, 0xffff, v16
	v_lshl_or_b32 v3, v3, 9, 0x7c00
	s_wait_alu 0xf1ff
	s_delay_alu instid0(VALU_DEP_3)
	v_cndmask_b32_e64 v21, 0x7c00, v21, s0
	v_cmp_ne_u32_e64 s0, v22, v27
	v_lshrrev_b32_e32 v27, 16, v90
	v_mul_f64_e32 v[0:1], s[8:9], v[0:1]
	v_and_or_b32 v12, 0x1ff, v13, v12
	s_wait_alu 0xf1ff
	v_cndmask_b32_e64 v17, 0, 1, s0
	v_cmp_eq_u32_e64 s0, 0x40f, v20
	v_add_nc_u32_e32 v20, 0xfffffc10, v25
	s_delay_alu instid0(VALU_DEP_3) | instskip(SKIP_1) | instid1(VALU_DEP_3)
	v_or_b32_e32 v17, v23, v17
	s_wait_alu 0xf1ff
	v_cndmask_b32_e64 v3, v21, v3, s0
	ds_load_b32 v21, v89 offset:3600
	v_lshl_or_b32 v22, v20, 12, v10
	v_cmp_gt_i32_e64 s0, 1, v20
	v_and_or_b32 v23, 0x8000, v4, v3
	v_cvt_f64_f32_e32 v[3:4], v14
	s_wait_alu 0xf1ff
	s_delay_alu instid0(VALU_DEP_3)
	v_cndmask_b32_e64 v15, v22, v17, s0
	v_cmp_ne_u32_e64 s0, 0, v12
	v_lshrrev_b32_e32 v17, 8, v13
	v_bfe_u32 v22, v13, 20, 11
	v_lshl_or_b32 v23, v23, 16, v16
	v_and_b32_e32 v24, 7, v15
	s_wait_alu 0xf1ff
	v_cndmask_b32_e64 v12, 0, 1, s0
	v_lshrrev_b32_e32 v15, 2, v15
	v_sub_nc_u32_e32 v14, 0x3f1, v22
	v_add_nc_u32_e32 v22, 0xfffffc10, v22
	v_cmp_lt_i32_e64 s0, 5, v24
	v_and_or_b32 v12, 0xffe, v17, v12
	v_cmp_eq_u32_e64 s1, 3, v24
	s_wait_dscnt 0x0
	v_lshrrev_b32_e32 v17, 16, v21
	v_med3_i32 v14, v14, 0, 13
	v_or_b32_e32 v25, 0x1000, v12
	s_or_b32 s0, s1, s0
	s_delay_alu instid0(VALU_DEP_3)
	v_mul_f16_e32 v26, v27, v17
	s_wait_alu 0xfffe
	v_add_co_ci_u32_e64 v15, s0, 0, v15, s0
	v_lshrrev_b32_e32 v16, v14, v25
	v_cmp_ne_u32_e64 s0, 0, v10
	v_fmac_f16_e32 v26, v90, v21
	v_and_or_b32 v0, 0x1ff, v1, v0
	v_mul_f16_e32 v21, v27, v21
	v_lshlrev_b32_e32 v24, v14, v16
	s_wait_alu 0xf1ff
	v_cndmask_b32_e64 v10, 0, 1, s0
	v_cvt_f32_f16_e32 v14, v26
	v_cmp_gt_i32_e64 s0, 31, v20
	v_fma_f16 v17, v90, v17, -v21
	v_lshl_or_b32 v21, v22, 12, v12
	v_lshl_or_b32 v10, v10, 9, 0x7c00
	s_wait_alu 0xf1ff
	v_cndmask_b32_e64 v26, 0x7c00, v15, s0
	v_cvt_f64_f32_e32 v[14:15], v14
	v_cmp_ne_u32_e64 s0, v24, v25
	v_lshrrev_b32_e32 v25, 8, v1
	v_mul_f64_e32 v[3:4], s[8:9], v[3:4]
	v_cvt_f32_f16_e32 v17, v17
	s_wait_alu 0xf1ff
	v_cndmask_b32_e64 v24, 0, 1, s0
	v_cmp_ne_u32_e64 s0, 0, v0
	s_delay_alu instid0(VALU_DEP_2) | instskip(SKIP_1) | instid1(VALU_DEP_2)
	v_or_b32_e32 v16, v16, v24
	s_wait_alu 0xf1ff
	v_cndmask_b32_e64 v0, 0, 1, s0
	v_bfe_u32 v24, v1, 20, 11
	v_cmp_gt_i32_e64 s0, 1, v22
	v_lshrrev_b32_e32 v1, 16, v1
	s_delay_alu instid0(VALU_DEP_4) | instskip(NEXT) | instid1(VALU_DEP_4)
	v_and_or_b32 v0, 0xffe, v25, v0
	v_sub_nc_u32_e32 v25, 0x3f1, v24
	s_wait_alu 0xf1ff
	v_cndmask_b32_e64 v21, v21, v16, s0
	v_cmp_eq_u32_e64 s0, 0x40f, v20
	v_cvt_f64_f32_e32 v[16:17], v17
	v_or_b32_e32 v27, 0x1000, v0
	v_med3_i32 v25, v25, 0, 13
	v_and_b32_e32 v28, 7, v21
	s_wait_alu 0xf1ff
	v_cndmask_b32_e64 v20, v26, v10, s0
	v_add_co_u32 v10, s0, v18, s6
	v_lshrrev_b32_e32 v29, v25, v27
	v_lshrrev_b32_e32 v26, 16, v11
	s_wait_alu 0xf1ff
	v_add_co_ci_u32_e64 v11, s0, s7, v19, s0
	v_cmp_lt_i32_e64 s0, 5, v28
	v_cmp_eq_u32_e64 s1, 3, v28
	v_lshrrev_b32_e32 v21, 2, v21
	v_lshlrev_b32_e32 v25, v25, v29
	v_add_nc_u32_e32 v24, 0xfffffc10, v24
	v_and_or_b32 v20, 0x8000, v26, v20
	s_or_b32 s0, s1, s0
	v_mul_f64_e32 v[14:15], s[8:9], v[14:15]
	s_wait_alu 0xfffe
	v_add_co_ci_u32_e64 v21, s0, 0, v21, s0
	v_cmp_ne_u32_e64 s2, v25, v27
	v_cmp_ne_u32_e64 s0, 0, v12
	v_lshl_or_b32 v26, v24, 12, v0
	v_and_or_b32 v3, 0x1ff, v4, v3
	v_and_b32_e32 v20, 0xffff, v20
	s_wait_alu 0xf1ff
	v_cndmask_b32_e64 v25, 0, 1, s2
	v_cndmask_b32_e64 v12, 0, 1, s0
	v_cmp_gt_i32_e64 s0, 31, v22
	v_lshrrev_b32_e32 v27, 8, v4
	s_delay_alu instid0(VALU_DEP_4) | instskip(NEXT) | instid1(VALU_DEP_4)
	v_or_b32_e32 v25, v29, v25
	v_lshl_or_b32 v12, v12, 9, 0x7c00
	s_wait_alu 0xf1ff
	v_cndmask_b32_e64 v21, 0x7c00, v21, s0
	v_cmp_gt_i32_e64 s0, 1, v24
	s_wait_alu 0xf1ff
	s_delay_alu instid0(VALU_DEP_1) | instskip(SKIP_2) | instid1(VALU_DEP_3)
	v_cndmask_b32_e64 v25, v26, v25, s0
	v_cmp_eq_u32_e64 s0, 0x40f, v22
	v_lshrrev_b32_e32 v22, 16, v13
	v_and_b32_e32 v26, 7, v25
	s_wait_alu 0xf1ff
	s_delay_alu instid0(VALU_DEP_3)
	v_cndmask_b32_e64 v21, v21, v12, s0
	v_cmp_ne_u32_e64 s0, 0, v3
	v_mul_f64_e32 v[12:13], s[8:9], v[16:17]
	v_bfe_u32 v16, v4, 20, 11
	v_cmp_eq_u32_e64 s1, 3, v26
	v_and_or_b32 v17, 0x8000, v22, v21
	s_wait_alu 0xf1ff
	v_cndmask_b32_e64 v3, 0, 1, s0
	v_cmp_lt_i32_e64 s0, 5, v26
	v_sub_nc_u32_e32 v21, 0x3f1, v16
	v_add_nc_u32_e32 v16, 0xfffffc10, v16
	v_lshl_or_b32 v17, v17, 16, v20
	v_lshrrev_b32_e32 v20, 2, v25
	v_and_or_b32 v3, 0xffe, v27, v3
	s_or_b32 s0, s1, s0
	v_med3_i32 v21, v21, 0, 13
	v_and_or_b32 v14, 0x1ff, v15, v14
	s_wait_alu 0xfffe
	v_add_co_ci_u32_e64 v20, s0, 0, v20, s0
	v_or_b32_e32 v22, 0x1000, v3
	v_cmp_ne_u32_e64 s0, 0, v0
	v_lshrrev_b32_e32 v26, 8, v15
	v_bfe_u32 v27, v15, 20, 11
	v_lshrrev_b32_e32 v4, 16, v4
	v_lshrrev_b32_e32 v25, v21, v22
	s_wait_alu 0xf1ff
	v_cndmask_b32_e64 v0, 0, 1, s0
	v_cmp_gt_i32_e64 s0, 31, v24
	v_lshrrev_b32_e32 v15, 16, v15
	v_lshlrev_b32_e32 v21, v21, v25
	s_delay_alu instid0(VALU_DEP_4) | instskip(SKIP_4) | instid1(VALU_DEP_1)
	v_lshl_or_b32 v0, v0, 9, 0x7c00
	s_wait_alu 0xf1ff
	v_cndmask_b32_e64 v20, 0x7c00, v20, s0
	v_cmp_ne_u32_e64 s0, 0, v14
	s_wait_alu 0xf1ff
	v_cndmask_b32_e64 v14, 0, 1, s0
	v_cmp_ne_u32_e64 s0, v21, v22
	v_sub_nc_u32_e32 v22, 0x3f1, v27
	v_and_or_b32 v12, 0x1ff, v13, v12
	s_delay_alu instid0(VALU_DEP_4)
	v_and_or_b32 v14, 0xffe, v26, v14
	s_wait_alu 0xf1ff
	v_cndmask_b32_e64 v21, 0, 1, s0
	v_cmp_eq_u32_e64 s0, 0x40f, v24
	v_med3_i32 v22, v22, 0, 13
	v_bfe_u32 v26, v13, 20, 11
	v_or_b32_e32 v24, 0x1000, v14
	s_wait_alu 0xf1ff
	v_cndmask_b32_e64 v0, v20, v0, s0
	v_or_b32_e32 v20, v25, v21
	v_lshl_or_b32 v21, v16, 12, v3
	v_cmp_gt_i32_e64 s0, 1, v16
	v_lshrrev_b32_e32 v25, 8, v13
	v_and_or_b32 v0, 0x8000, v1, v0
	s_wait_alu 0xf1ff
	s_delay_alu instid0(VALU_DEP_3) | instskip(SKIP_3) | instid1(VALU_DEP_4)
	v_cndmask_b32_e64 v20, v21, v20, s0
	v_lshrrev_b32_e32 v21, v22, v24
	v_cmp_ne_u32_e64 s0, 0, v12
	v_and_b32_e32 v0, 0xffff, v0
	v_and_b32_e32 v28, 7, v20
	s_delay_alu instid0(VALU_DEP_4)
	v_lshlrev_b32_e32 v22, v22, v21
	s_wait_alu 0xf1ff
	v_cndmask_b32_e64 v12, 0, 1, s0
	v_lshrrev_b32_e32 v20, 2, v20
	v_cmp_lt_i32_e64 s0, 5, v28
	v_cmp_ne_u32_e64 s1, v22, v24
	s_delay_alu instid0(VALU_DEP_4)
	v_and_or_b32 v1, 0xffe, v25, v12
	v_sub_nc_u32_e32 v12, 0x3f1, v26
	v_add_nc_u32_e32 v25, 0xfffffc10, v27
	s_wait_alu 0xf1ff
	v_cndmask_b32_e64 v22, 0, 1, s1
	v_cmp_eq_u32_e64 s1, 3, v28
	v_or_b32_e32 v24, 0x1000, v1
	v_med3_i32 v12, v12, 0, 13
	v_lshl_or_b32 v27, v25, 12, v14
	v_or_b32_e32 v21, v21, v22
	s_or_b32 s0, s1, s0
	s_wait_alu 0xfffe
	v_add_co_ci_u32_e64 v20, s0, 0, v20, s0
	v_lshrrev_b32_e32 v22, v12, v24
	v_cmp_gt_i32_e64 s0, 1, v25
	s_delay_alu instid0(VALU_DEP_2) | instskip(SKIP_1) | instid1(VALU_DEP_2)
	v_lshlrev_b32_e32 v12, v12, v22
	s_wait_alu 0xf1ff
	v_cndmask_b32_e64 v21, v27, v21, s0
	v_cmp_ne_u32_e64 s0, 0, v3
	s_wait_alu 0xf1ff
	s_delay_alu instid0(VALU_DEP_1) | instskip(SKIP_3) | instid1(VALU_DEP_4)
	v_cndmask_b32_e64 v3, 0, 1, s0
	v_cmp_ne_u32_e64 s0, v12, v24
	v_add_nc_u32_e32 v24, 0xfffffc10, v26
	v_and_b32_e32 v26, 7, v21
	v_lshl_or_b32 v3, v3, 9, 0x7c00
	s_wait_alu 0xf1ff
	v_cndmask_b32_e64 v12, 0, 1, s0
	v_cmp_gt_i32_e64 s0, 31, v16
	v_cmp_gt_i32_e64 s2, 1, v24
	v_cmp_eq_u32_e64 s1, 3, v26
	s_delay_alu instid0(VALU_DEP_4) | instskip(SKIP_4) | instid1(VALU_DEP_3)
	v_or_b32_e32 v12, v22, v12
	v_lshl_or_b32 v22, v24, 12, v1
	s_wait_alu 0xf1ff
	v_cndmask_b32_e64 v20, 0x7c00, v20, s0
	v_cmp_lt_i32_e64 s0, 5, v26
	v_cndmask_b32_e64 v12, v22, v12, s2
	v_cmp_eq_u32_e64 s2, 0x40f, v16
	v_lshrrev_b32_e32 v16, 2, v21
	s_delay_alu instid0(VALU_DEP_4) | instskip(NEXT) | instid1(VALU_DEP_2)
	s_or_b32 s0, s1, s0
	v_cndmask_b32_e64 v3, v20, v3, s2
	s_wait_alu 0xfffe
	s_delay_alu instid0(VALU_DEP_2) | instskip(SKIP_4) | instid1(VALU_DEP_4)
	v_add_co_ci_u32_e64 v16, s0, 0, v16, s0
	v_and_b32_e32 v20, 7, v12
	v_cmp_ne_u32_e64 s0, 0, v14
	v_lshrrev_b32_e32 v12, 2, v12
	v_cmp_gt_i32_e64 s2, 31, v25
	v_cmp_eq_u32_e64 s1, 3, v20
	s_wait_alu 0xf1ff
	v_cndmask_b32_e64 v14, 0, 1, s0
	v_cmp_lt_i32_e64 s0, 5, v20
	v_cndmask_b32_e64 v16, 0x7c00, v16, s2
	s_delay_alu instid0(VALU_DEP_3) | instskip(NEXT) | instid1(VALU_DEP_3)
	v_lshl_or_b32 v14, v14, 9, 0x7c00
	s_or_b32 s0, s1, s0
	s_wait_alu 0xfffe
	v_add_co_ci_u32_e64 v12, s0, 0, v12, s0
	v_cmp_ne_u32_e64 s0, 0, v1
	s_wait_alu 0xf1ff
	s_delay_alu instid0(VALU_DEP_1) | instskip(SKIP_1) | instid1(VALU_DEP_2)
	v_cndmask_b32_e64 v1, 0, 1, s0
	v_cmp_eq_u32_e64 s0, 0x40f, v25
	v_lshl_or_b32 v1, v1, 9, 0x7c00
	s_wait_alu 0xf1ff
	s_delay_alu instid0(VALU_DEP_2) | instskip(SKIP_2) | instid1(VALU_DEP_3)
	v_cndmask_b32_e64 v14, v16, v14, s0
	v_cmp_gt_i32_e64 s0, 31, v24
	v_and_or_b32 v16, 0x8000, v4, v3
	v_and_or_b32 v14, 0x8000, v15, v14
	s_wait_alu 0xf1ff
	s_delay_alu instid0(VALU_DEP_3) | instskip(SKIP_3) | instid1(VALU_DEP_2)
	v_cndmask_b32_e64 v12, 0x7c00, v12, s0
	v_cmp_eq_u32_e64 s0, 0x40f, v24
	v_lshl_or_b32 v15, v16, 16, v0
	s_wait_alu 0xf1ff
	v_cndmask_b32_e64 v1, v12, v1, s0
	v_lshrrev_b32_e32 v12, 16, v13
	v_add_co_u32 v3, s0, v10, s6
	s_wait_alu 0xf1ff
	v_add_co_ci_u32_e64 v4, s0, s7, v11, s0
	s_delay_alu instid0(VALU_DEP_3) | instskip(SKIP_4) | instid1(VALU_DEP_3)
	v_and_or_b32 v0, 0x8000, v12, v1
	v_and_b32_e32 v1, 0xffff, v14
	v_add_co_u32 v12, s0, v3, s6
	s_wait_alu 0xf1ff
	v_add_co_ci_u32_e64 v13, s0, s7, v4, s0
	v_lshl_or_b32 v14, v0, 16, v1
	s_delay_alu instid0(VALU_DEP_3) | instskip(SKIP_1) | instid1(VALU_DEP_3)
	v_add_co_u32 v0, s0, v12, s6
	s_wait_alu 0xf1ff
	v_add_co_ci_u32_e64 v1, s0, s7, v13, s0
	global_store_b32 v[18:19], v5, off
	global_store_b32 v[10:11], v23, off
	;; [unrolled: 1-line block ×5, first 2 shown]
	s_and_b32 exec_lo, exec_lo, vcc_lo
	s_cbranch_execz .LBB0_23
; %bb.22:
	global_load_b32 v5, v[40:41], off offset:156
	ds_load_2addr_b32 v[3:4], v89 offset0:39 offset1:114
	v_mad_co_u64_u32 v[0:1], null, 0xfffff28c, s4, v[0:1]
	s_wait_dscnt 0x0
	v_lshrrev_b32_e32 v10, 16, v3
	s_wait_loadcnt 0x0
	v_lshrrev_b32_e32 v11, 16, v5
	s_delay_alu instid0(VALU_DEP_1) | instskip(SKIP_1) | instid1(VALU_DEP_2)
	v_mul_f16_e32 v12, v10, v11
	v_mul_f16_e32 v11, v3, v11
	v_fmac_f16_e32 v12, v3, v5
	s_delay_alu instid0(VALU_DEP_2) | instskip(NEXT) | instid1(VALU_DEP_2)
	v_fma_f16 v3, v5, v10, -v11
	v_cvt_f32_f16_e32 v5, v12
	s_delay_alu instid0(VALU_DEP_2) | instskip(NEXT) | instid1(VALU_DEP_2)
	v_cvt_f32_f16_e32 v3, v3
	v_cvt_f64_f32_e32 v[10:11], v5
	s_delay_alu instid0(VALU_DEP_2) | instskip(NEXT) | instid1(VALU_DEP_2)
	v_cvt_f64_f32_e32 v[12:13], v3
	v_mul_f64_e32 v[10:11], s[8:9], v[10:11]
	s_delay_alu instid0(VALU_DEP_2) | instskip(NEXT) | instid1(VALU_DEP_2)
	v_mul_f64_e32 v[12:13], s[8:9], v[12:13]
	v_and_or_b32 v3, 0x1ff, v11, v10
	s_delay_alu instid0(VALU_DEP_2)
	v_and_or_b32 v12, 0x1ff, v13, v12
	v_lshrrev_b32_e32 v5, 8, v11
	v_bfe_u32 v10, v11, 20, 11
	v_lshrrev_b32_e32 v14, 8, v13
	v_cmp_ne_u32_e32 vcc_lo, 0, v3
	v_bfe_u32 v15, v13, 20, 11
	v_lshrrev_b32_e32 v11, 16, v11
	v_sub_nc_u32_e32 v16, 0x3f1, v10
	v_add_nc_u32_e32 v10, 0xfffffc10, v10
	s_wait_alu 0xfffd
	v_cndmask_b32_e64 v3, 0, 1, vcc_lo
	v_cmp_ne_u32_e32 vcc_lo, 0, v12
	s_delay_alu instid0(VALU_DEP_2) | instskip(SKIP_4) | instid1(VALU_DEP_3)
	v_and_or_b32 v3, 0xffe, v5, v3
	s_wait_alu 0xfffd
	v_cndmask_b32_e64 v12, 0, 1, vcc_lo
	v_sub_nc_u32_e32 v5, 0x3f1, v15
	v_add_nc_u32_e32 v15, 0xfffffc10, v15
	v_and_or_b32 v12, 0xffe, v14, v12
	v_med3_i32 v14, v16, 0, 13
	v_or_b32_e32 v16, 0x1000, v3
	v_med3_i32 v5, v5, 0, 13
	s_delay_alu instid0(VALU_DEP_4) | instskip(NEXT) | instid1(VALU_DEP_3)
	v_or_b32_e32 v17, 0x1000, v12
	v_lshrrev_b32_e32 v18, v14, v16
	s_delay_alu instid0(VALU_DEP_2) | instskip(NEXT) | instid1(VALU_DEP_2)
	v_lshrrev_b32_e32 v19, v5, v17
	v_lshlrev_b32_e32 v14, v14, v18
	s_delay_alu instid0(VALU_DEP_1) | instskip(SKIP_3) | instid1(VALU_DEP_1)
	v_cmp_ne_u32_e32 vcc_lo, v14, v16
	v_lshl_or_b32 v16, v10, 12, v3
	s_wait_alu 0xfffd
	v_cndmask_b32_e64 v14, 0, 1, vcc_lo
	v_or_b32_e32 v14, v18, v14
	v_lshlrev_b32_e32 v5, v5, v19
	s_delay_alu instid0(VALU_DEP_1) | instskip(SKIP_4) | instid1(VALU_DEP_2)
	v_cmp_ne_u32_e32 vcc_lo, v5, v17
	v_lshl_or_b32 v17, v15, 12, v12
	s_wait_alu 0xfffd
	v_cndmask_b32_e64 v5, 0, 1, vcc_lo
	v_cmp_gt_i32_e32 vcc_lo, 1, v10
	v_or_b32_e32 v5, v19, v5
	s_wait_alu 0xfffd
	v_cndmask_b32_e32 v14, v16, v14, vcc_lo
	v_cmp_gt_i32_e32 vcc_lo, 1, v15
	s_wait_alu 0xfffd
	s_delay_alu instid0(VALU_DEP_2) | instskip(SKIP_2) | instid1(VALU_DEP_3)
	v_dual_cndmask_b32 v5, v17, v5 :: v_dual_and_b32 v16, 7, v14
	v_cmp_ne_u32_e32 vcc_lo, 0, v3
	v_lshrrev_b32_e32 v14, 2, v14
	v_cmp_eq_u32_e64 s0, 3, v16
	s_wait_alu 0xfffd
	v_cndmask_b32_e64 v3, 0, 1, vcc_lo
	v_cmp_ne_u32_e32 vcc_lo, 0, v12
	s_delay_alu instid0(VALU_DEP_2) | instskip(SKIP_3) | instid1(VALU_DEP_2)
	v_lshl_or_b32 v3, v3, 9, 0x7c00
	s_wait_alu 0xfffd
	v_cndmask_b32_e64 v12, 0, 1, vcc_lo
	v_cmp_lt_i32_e32 vcc_lo, 5, v16
	v_lshl_or_b32 v12, v12, 9, 0x7c00
	s_or_b32 vcc_lo, s0, vcc_lo
	s_mul_i32 s0, s5, 0xfffff28c
	s_wait_alu 0xfffe
	v_add_co_ci_u32_e32 v14, vcc_lo, 0, v14, vcc_lo
	v_and_b32_e32 v17, 7, v5
	v_lshrrev_b32_e32 v5, 2, v5
	s_sub_co_i32 s0, s0, s4
	s_wait_alu 0xfffe
	v_add_nc_u32_e32 v1, s0, v1
	v_cmp_lt_i32_e64 s1, 5, v17
	v_cmp_eq_u32_e64 s2, 3, v17
	s_delay_alu instid0(VALU_DEP_1)
	s_or_b32 vcc_lo, s2, s1
	s_wait_alu 0xfffe
	v_add_co_ci_u32_e32 v5, vcc_lo, 0, v5, vcc_lo
	v_cmp_gt_i32_e32 vcc_lo, 31, v10
	s_wait_alu 0xfffd
	v_cndmask_b32_e32 v14, 0x7c00, v14, vcc_lo
	v_cmp_gt_i32_e32 vcc_lo, 31, v15
	s_wait_alu 0xfffd
	v_cndmask_b32_e32 v5, 0x7c00, v5, vcc_lo
	v_cmp_eq_u32_e32 vcc_lo, 0x40f, v10
	v_lshrrev_b32_e32 v10, 16, v13
	s_wait_alu 0xfffd
	v_cndmask_b32_e32 v3, v14, v3, vcc_lo
	v_cmp_eq_u32_e32 vcc_lo, 0x40f, v15
	s_delay_alu instid0(VALU_DEP_2) | instskip(SKIP_2) | instid1(VALU_DEP_2)
	v_and_or_b32 v3, 0x8000, v11, v3
	s_wait_alu 0xfffd
	v_cndmask_b32_e32 v5, v5, v12, vcc_lo
	v_and_b32_e32 v3, 0xffff, v3
	s_delay_alu instid0(VALU_DEP_2) | instskip(NEXT) | instid1(VALU_DEP_1)
	v_and_or_b32 v5, 0x8000, v10, v5
	v_lshl_or_b32 v3, v5, 16, v3
	v_lshrrev_b32_e32 v5, 16, v4
	global_store_b32 v[0:1], v3, off
	global_load_b32 v3, v[40:41], off offset:456
	s_wait_loadcnt 0x0
	v_lshrrev_b32_e32 v10, 16, v3
	s_delay_alu instid0(VALU_DEP_1) | instskip(SKIP_1) | instid1(VALU_DEP_2)
	v_mul_f16_e32 v11, v5, v10
	v_mul_f16_e32 v10, v4, v10
	v_fmac_f16_e32 v11, v4, v3
	s_delay_alu instid0(VALU_DEP_2) | instskip(NEXT) | instid1(VALU_DEP_2)
	v_fma_f16 v3, v3, v5, -v10
	v_cvt_f32_f16_e32 v4, v11
	s_delay_alu instid0(VALU_DEP_2) | instskip(NEXT) | instid1(VALU_DEP_2)
	v_cvt_f32_f16_e32 v5, v3
	v_cvt_f64_f32_e32 v[3:4], v4
	s_delay_alu instid0(VALU_DEP_2) | instskip(NEXT) | instid1(VALU_DEP_2)
	v_cvt_f64_f32_e32 v[10:11], v5
	v_mul_f64_e32 v[3:4], s[8:9], v[3:4]
	s_delay_alu instid0(VALU_DEP_2) | instskip(NEXT) | instid1(VALU_DEP_2)
	v_mul_f64_e32 v[10:11], s[8:9], v[10:11]
	v_and_or_b32 v3, 0x1ff, v4, v3
	s_delay_alu instid0(VALU_DEP_2)
	v_and_or_b32 v10, 0x1ff, v11, v10
	v_lshrrev_b32_e32 v5, 8, v4
	v_bfe_u32 v12, v4, 20, 11
	v_lshrrev_b32_e32 v13, 8, v11
	v_cmp_ne_u32_e32 vcc_lo, 0, v3
	v_bfe_u32 v14, v11, 20, 11
	v_lshrrev_b32_e32 v4, 16, v4
	v_sub_nc_u32_e32 v15, 0x3f1, v12
	v_lshrrev_b32_e32 v11, 16, v11
	s_wait_alu 0xfffd
	v_cndmask_b32_e64 v3, 0, 1, vcc_lo
	v_cmp_ne_u32_e32 vcc_lo, 0, v10
	s_delay_alu instid0(VALU_DEP_2) | instskip(SKIP_4) | instid1(VALU_DEP_3)
	v_and_or_b32 v3, 0xffe, v5, v3
	s_wait_alu 0xfffd
	v_cndmask_b32_e64 v10, 0, 1, vcc_lo
	v_sub_nc_u32_e32 v5, 0x3f1, v14
	v_add_nc_u32_e32 v14, 0xfffffc10, v14
	v_and_or_b32 v10, 0xffe, v13, v10
	v_med3_i32 v13, v15, 0, 13
	v_or_b32_e32 v15, 0x1000, v3
	v_med3_i32 v5, v5, 0, 13
	s_delay_alu instid0(VALU_DEP_4) | instskip(NEXT) | instid1(VALU_DEP_3)
	v_or_b32_e32 v16, 0x1000, v10
	v_lshrrev_b32_e32 v17, v13, v15
	s_delay_alu instid0(VALU_DEP_2) | instskip(NEXT) | instid1(VALU_DEP_2)
	v_lshrrev_b32_e32 v18, v5, v16
	v_lshlrev_b32_e32 v13, v13, v17
	s_delay_alu instid0(VALU_DEP_2) | instskip(NEXT) | instid1(VALU_DEP_2)
	v_lshlrev_b32_e32 v5, v5, v18
	v_cmp_ne_u32_e32 vcc_lo, v13, v15
	s_wait_alu 0xfffd
	v_cndmask_b32_e64 v13, 0, 1, vcc_lo
	s_delay_alu instid0(VALU_DEP_3) | instskip(SKIP_1) | instid1(VALU_DEP_3)
	v_cmp_ne_u32_e32 vcc_lo, v5, v16
	v_lshl_or_b32 v16, v14, 12, v10
	v_or_b32_e32 v13, v17, v13
	v_add_nc_u32_e32 v12, 0xfffffc10, v12
	s_wait_alu 0xfffd
	v_cndmask_b32_e64 v5, 0, 1, vcc_lo
	s_delay_alu instid0(VALU_DEP_2) | instskip(SKIP_1) | instid1(VALU_DEP_3)
	v_lshl_or_b32 v15, v12, 12, v3
	v_cmp_gt_i32_e32 vcc_lo, 1, v12
	v_or_b32_e32 v5, v18, v5
	s_wait_alu 0xfffd
	s_delay_alu instid0(VALU_DEP_3) | instskip(SKIP_1) | instid1(VALU_DEP_2)
	v_cndmask_b32_e32 v13, v15, v13, vcc_lo
	v_cmp_gt_i32_e32 vcc_lo, 1, v14
	v_and_b32_e32 v15, 7, v13
	s_wait_alu 0xfffd
	v_cndmask_b32_e32 v5, v16, v5, vcc_lo
	v_cmp_ne_u32_e32 vcc_lo, 0, v3
	v_lshrrev_b32_e32 v13, 2, v13
	v_cmp_eq_u32_e64 s0, 3, v15
	s_wait_alu 0xfffd
	v_cndmask_b32_e64 v3, 0, 1, vcc_lo
	v_cmp_ne_u32_e32 vcc_lo, 0, v10
	s_delay_alu instid0(VALU_DEP_2)
	v_lshl_or_b32 v3, v3, 9, 0x7c00
	v_and_b32_e32 v16, 7, v5
	s_wait_alu 0xfffd
	v_cndmask_b32_e64 v10, 0, 1, vcc_lo
	v_cmp_lt_i32_e32 vcc_lo, 5, v15
	v_lshrrev_b32_e32 v5, 2, v5
	v_cmp_lt_i32_e64 s1, 5, v16
	v_cmp_eq_u32_e64 s2, 3, v16
	s_or_b32 vcc_lo, s0, vcc_lo
	v_lshl_or_b32 v10, v10, 9, 0x7c00
	s_wait_alu 0xfffe
	v_add_co_ci_u32_e32 v13, vcc_lo, 0, v13, vcc_lo
	s_or_b32 vcc_lo, s2, s1
	s_wait_alu 0xfffe
	v_add_co_ci_u32_e32 v5, vcc_lo, 0, v5, vcc_lo
	v_cmp_gt_i32_e32 vcc_lo, 31, v12
	s_wait_alu 0xfffd
	v_cndmask_b32_e32 v13, 0x7c00, v13, vcc_lo
	v_cmp_gt_i32_e32 vcc_lo, 31, v14
	s_wait_alu 0xfffd
	v_cndmask_b32_e32 v5, 0x7c00, v5, vcc_lo
	v_cmp_eq_u32_e32 vcc_lo, 0x40f, v12
	s_wait_alu 0xfffd
	v_cndmask_b32_e32 v3, v13, v3, vcc_lo
	v_cmp_eq_u32_e32 vcc_lo, 0x40f, v14
	s_delay_alu instid0(VALU_DEP_2)
	v_and_or_b32 v3, 0x8000, v4, v3
	s_wait_alu 0xfffd
	v_cndmask_b32_e32 v5, v5, v10, vcc_lo
	v_add_co_u32 v0, vcc_lo, v0, s6
	s_wait_alu 0xfffd
	v_add_co_ci_u32_e32 v1, vcc_lo, s7, v1, vcc_lo
	s_delay_alu instid0(VALU_DEP_3) | instskip(SKIP_1) | instid1(VALU_DEP_1)
	v_and_or_b32 v4, 0x8000, v11, v5
	v_and_b32_e32 v3, 0xffff, v3
	v_lshl_or_b32 v3, v4, 16, v3
	global_store_b32 v[0:1], v3, off
	global_load_b32 v5, v[40:41], off offset:756
	ds_load_2addr_b32 v[3:4], v9 offset0:61 offset1:136
	s_wait_dscnt 0x0
	v_lshrrev_b32_e32 v9, 16, v3
	s_wait_loadcnt 0x0
	v_lshrrev_b32_e32 v10, 16, v5
	s_delay_alu instid0(VALU_DEP_1) | instskip(SKIP_1) | instid1(VALU_DEP_2)
	v_mul_f16_e32 v11, v9, v10
	v_mul_f16_e32 v10, v3, v10
	v_fmac_f16_e32 v11, v3, v5
	s_delay_alu instid0(VALU_DEP_2) | instskip(NEXT) | instid1(VALU_DEP_2)
	v_fma_f16 v3, v5, v9, -v10
	v_cvt_f32_f16_e32 v5, v11
	s_delay_alu instid0(VALU_DEP_2) | instskip(NEXT) | instid1(VALU_DEP_2)
	v_cvt_f32_f16_e32 v3, v3
	v_cvt_f64_f32_e32 v[9:10], v5
	s_delay_alu instid0(VALU_DEP_2) | instskip(NEXT) | instid1(VALU_DEP_2)
	v_cvt_f64_f32_e32 v[11:12], v3
	v_mul_f64_e32 v[9:10], s[8:9], v[9:10]
	s_delay_alu instid0(VALU_DEP_2) | instskip(NEXT) | instid1(VALU_DEP_2)
	v_mul_f64_e32 v[11:12], s[8:9], v[11:12]
	v_and_or_b32 v3, 0x1ff, v10, v9
	s_delay_alu instid0(VALU_DEP_2)
	v_and_or_b32 v11, 0x1ff, v12, v11
	v_lshrrev_b32_e32 v5, 8, v10
	v_bfe_u32 v9, v10, 20, 11
	v_lshrrev_b32_e32 v13, 8, v12
	v_cmp_ne_u32_e32 vcc_lo, 0, v3
	v_bfe_u32 v14, v12, 20, 11
	v_lshrrev_b32_e32 v10, 16, v10
	v_sub_nc_u32_e32 v15, 0x3f1, v9
	v_add_nc_u32_e32 v9, 0xfffffc10, v9
	s_wait_alu 0xfffd
	v_cndmask_b32_e64 v3, 0, 1, vcc_lo
	v_cmp_ne_u32_e32 vcc_lo, 0, v11
	s_delay_alu instid0(VALU_DEP_2) | instskip(SKIP_4) | instid1(VALU_DEP_3)
	v_and_or_b32 v3, 0xffe, v5, v3
	s_wait_alu 0xfffd
	v_cndmask_b32_e64 v11, 0, 1, vcc_lo
	v_sub_nc_u32_e32 v5, 0x3f1, v14
	v_add_nc_u32_e32 v14, 0xfffffc10, v14
	v_and_or_b32 v11, 0xffe, v13, v11
	v_med3_i32 v13, v15, 0, 13
	v_or_b32_e32 v15, 0x1000, v3
	v_med3_i32 v5, v5, 0, 13
	s_delay_alu instid0(VALU_DEP_4) | instskip(NEXT) | instid1(VALU_DEP_3)
	v_or_b32_e32 v16, 0x1000, v11
	v_lshrrev_b32_e32 v17, v13, v15
	s_delay_alu instid0(VALU_DEP_2) | instskip(NEXT) | instid1(VALU_DEP_2)
	v_lshrrev_b32_e32 v18, v5, v16
	v_lshlrev_b32_e32 v13, v13, v17
	s_delay_alu instid0(VALU_DEP_2) | instskip(NEXT) | instid1(VALU_DEP_2)
	v_lshlrev_b32_e32 v5, v5, v18
	v_cmp_ne_u32_e32 vcc_lo, v13, v15
	v_lshl_or_b32 v15, v9, 12, v3
	s_wait_alu 0xfffd
	v_cndmask_b32_e64 v13, 0, 1, vcc_lo
	v_cmp_ne_u32_e32 vcc_lo, v5, v16
	v_lshl_or_b32 v16, v14, 12, v11
	s_delay_alu instid0(VALU_DEP_3) | instskip(SKIP_3) | instid1(VALU_DEP_2)
	v_or_b32_e32 v13, v17, v13
	s_wait_alu 0xfffd
	v_cndmask_b32_e64 v5, 0, 1, vcc_lo
	v_cmp_gt_i32_e32 vcc_lo, 1, v9
	v_or_b32_e32 v5, v18, v5
	s_wait_alu 0xfffd
	v_cndmask_b32_e32 v13, v15, v13, vcc_lo
	v_cmp_gt_i32_e32 vcc_lo, 1, v14
	s_delay_alu instid0(VALU_DEP_2)
	v_and_b32_e32 v15, 7, v13
	s_wait_alu 0xfffd
	v_cndmask_b32_e32 v5, v16, v5, vcc_lo
	v_cmp_ne_u32_e32 vcc_lo, 0, v3
	v_lshrrev_b32_e32 v13, 2, v13
	v_cmp_eq_u32_e64 s0, 3, v15
	s_wait_alu 0xfffd
	v_cndmask_b32_e64 v3, 0, 1, vcc_lo
	v_cmp_ne_u32_e32 vcc_lo, 0, v11
	s_delay_alu instid0(VALU_DEP_2)
	v_lshl_or_b32 v3, v3, 9, 0x7c00
	v_and_b32_e32 v16, 7, v5
	s_wait_alu 0xfffd
	v_cndmask_b32_e64 v11, 0, 1, vcc_lo
	v_cmp_lt_i32_e32 vcc_lo, 5, v15
	v_lshrrev_b32_e32 v5, 2, v5
	v_cmp_lt_i32_e64 s1, 5, v16
	v_cmp_eq_u32_e64 s2, 3, v16
	s_or_b32 vcc_lo, s0, vcc_lo
	v_lshl_or_b32 v11, v11, 9, 0x7c00
	s_wait_alu 0xfffe
	v_add_co_ci_u32_e32 v13, vcc_lo, 0, v13, vcc_lo
	s_or_b32 vcc_lo, s2, s1
	s_wait_alu 0xfffe
	v_add_co_ci_u32_e32 v5, vcc_lo, 0, v5, vcc_lo
	v_cmp_gt_i32_e32 vcc_lo, 31, v9
	s_wait_alu 0xfffd
	v_cndmask_b32_e32 v13, 0x7c00, v13, vcc_lo
	v_cmp_gt_i32_e32 vcc_lo, 31, v14
	s_wait_alu 0xfffd
	v_cndmask_b32_e32 v5, 0x7c00, v5, vcc_lo
	v_cmp_eq_u32_e32 vcc_lo, 0x40f, v9
	v_lshrrev_b32_e32 v9, 16, v12
	s_wait_alu 0xfffd
	v_cndmask_b32_e32 v3, v13, v3, vcc_lo
	v_cmp_eq_u32_e32 vcc_lo, 0x40f, v14
	s_delay_alu instid0(VALU_DEP_2)
	v_and_or_b32 v3, 0x8000, v10, v3
	s_wait_alu 0xfffd
	v_cndmask_b32_e32 v5, v5, v11, vcc_lo
	v_add_co_u32 v0, vcc_lo, v0, s6
	s_wait_alu 0xfffd
	v_add_co_ci_u32_e32 v1, vcc_lo, s7, v1, vcc_lo
	s_delay_alu instid0(VALU_DEP_3) | instskip(SKIP_1) | instid1(VALU_DEP_1)
	v_and_or_b32 v5, 0x8000, v9, v5
	v_and_b32_e32 v3, 0xffff, v3
	v_lshl_or_b32 v3, v5, 16, v3
	v_lshrrev_b32_e32 v5, 16, v4
	global_store_b32 v[0:1], v3, off
	global_load_b32 v3, v[40:41], off offset:1056
	s_wait_loadcnt 0x0
	v_lshrrev_b32_e32 v9, 16, v3
	s_delay_alu instid0(VALU_DEP_1) | instskip(SKIP_1) | instid1(VALU_DEP_2)
	v_mul_f16_e32 v10, v5, v9
	v_mul_f16_e32 v9, v4, v9
	v_fmac_f16_e32 v10, v4, v3
	s_delay_alu instid0(VALU_DEP_2) | instskip(NEXT) | instid1(VALU_DEP_2)
	v_fma_f16 v3, v3, v5, -v9
	v_cvt_f32_f16_e32 v4, v10
	s_delay_alu instid0(VALU_DEP_2) | instskip(NEXT) | instid1(VALU_DEP_2)
	v_cvt_f32_f16_e32 v5, v3
	v_cvt_f64_f32_e32 v[3:4], v4
	s_delay_alu instid0(VALU_DEP_2) | instskip(NEXT) | instid1(VALU_DEP_2)
	v_cvt_f64_f32_e32 v[9:10], v5
	v_mul_f64_e32 v[3:4], s[8:9], v[3:4]
	s_delay_alu instid0(VALU_DEP_2) | instskip(NEXT) | instid1(VALU_DEP_2)
	v_mul_f64_e32 v[9:10], s[8:9], v[9:10]
	v_and_or_b32 v3, 0x1ff, v4, v3
	s_delay_alu instid0(VALU_DEP_2)
	v_and_or_b32 v9, 0x1ff, v10, v9
	v_lshrrev_b32_e32 v5, 8, v4
	v_bfe_u32 v11, v4, 20, 11
	v_lshrrev_b32_e32 v12, 8, v10
	v_cmp_ne_u32_e32 vcc_lo, 0, v3
	v_bfe_u32 v13, v10, 20, 11
	v_lshrrev_b32_e32 v4, 16, v4
	v_sub_nc_u32_e32 v14, 0x3f1, v11
	v_add_nc_u32_e32 v11, 0xfffffc10, v11
	s_wait_alu 0xfffd
	v_cndmask_b32_e64 v3, 0, 1, vcc_lo
	v_cmp_ne_u32_e32 vcc_lo, 0, v9
	v_lshrrev_b32_e32 v10, 16, v10
	s_delay_alu instid0(VALU_DEP_3) | instskip(SKIP_4) | instid1(VALU_DEP_3)
	v_and_or_b32 v3, 0xffe, v5, v3
	s_wait_alu 0xfffd
	v_cndmask_b32_e64 v9, 0, 1, vcc_lo
	v_sub_nc_u32_e32 v5, 0x3f1, v13
	v_add_nc_u32_e32 v13, 0xfffffc10, v13
	v_and_or_b32 v9, 0xffe, v12, v9
	v_med3_i32 v12, v14, 0, 13
	v_or_b32_e32 v14, 0x1000, v3
	v_med3_i32 v5, v5, 0, 13
	s_delay_alu instid0(VALU_DEP_4) | instskip(NEXT) | instid1(VALU_DEP_3)
	v_or_b32_e32 v15, 0x1000, v9
	v_lshrrev_b32_e32 v16, v12, v14
	s_delay_alu instid0(VALU_DEP_2) | instskip(NEXT) | instid1(VALU_DEP_2)
	v_lshrrev_b32_e32 v17, v5, v15
	v_lshlrev_b32_e32 v12, v12, v16
	s_delay_alu instid0(VALU_DEP_2) | instskip(NEXT) | instid1(VALU_DEP_2)
	v_lshlrev_b32_e32 v5, v5, v17
	v_cmp_ne_u32_e32 vcc_lo, v12, v14
	v_lshl_or_b32 v14, v11, 12, v3
	s_wait_alu 0xfffd
	v_cndmask_b32_e64 v12, 0, 1, vcc_lo
	v_cmp_ne_u32_e32 vcc_lo, v5, v15
	v_lshl_or_b32 v15, v13, 12, v9
	s_delay_alu instid0(VALU_DEP_3) | instskip(SKIP_3) | instid1(VALU_DEP_2)
	v_or_b32_e32 v12, v16, v12
	s_wait_alu 0xfffd
	v_cndmask_b32_e64 v5, 0, 1, vcc_lo
	v_cmp_gt_i32_e32 vcc_lo, 1, v11
	v_or_b32_e32 v5, v17, v5
	s_wait_alu 0xfffd
	v_cndmask_b32_e32 v12, v14, v12, vcc_lo
	v_cmp_gt_i32_e32 vcc_lo, 1, v13
	s_wait_alu 0xfffd
	s_delay_alu instid0(VALU_DEP_2) | instskip(SKIP_2) | instid1(VALU_DEP_3)
	v_dual_cndmask_b32 v5, v15, v5 :: v_dual_and_b32 v14, 7, v12
	v_cmp_ne_u32_e32 vcc_lo, 0, v3
	v_lshrrev_b32_e32 v12, 2, v12
	v_cmp_eq_u32_e64 s0, 3, v14
	s_delay_alu instid0(VALU_DEP_4)
	v_and_b32_e32 v15, 7, v5
	s_wait_alu 0xfffd
	v_cndmask_b32_e64 v3, 0, 1, vcc_lo
	v_cmp_ne_u32_e32 vcc_lo, 0, v9
	v_lshrrev_b32_e32 v5, 2, v5
	v_cmp_lt_i32_e64 s1, 5, v15
	v_cmp_eq_u32_e64 s2, 3, v15
	s_wait_alu 0xfffd
	v_cndmask_b32_e64 v9, 0, 1, vcc_lo
	v_cmp_lt_i32_e32 vcc_lo, 5, v14
	v_lshl_or_b32 v3, v3, 9, 0x7c00
	s_delay_alu instid0(VALU_DEP_3)
	v_lshl_or_b32 v9, v9, 9, 0x7c00
	s_or_b32 vcc_lo, s0, vcc_lo
	s_wait_alu 0xfffe
	v_add_co_ci_u32_e32 v12, vcc_lo, 0, v12, vcc_lo
	s_or_b32 vcc_lo, s2, s1
	s_wait_alu 0xfffe
	v_add_co_ci_u32_e32 v5, vcc_lo, 0, v5, vcc_lo
	v_cmp_gt_i32_e32 vcc_lo, 31, v11
	s_wait_alu 0xfffd
	v_cndmask_b32_e32 v12, 0x7c00, v12, vcc_lo
	v_cmp_gt_i32_e32 vcc_lo, 31, v13
	s_wait_alu 0xfffd
	v_cndmask_b32_e32 v5, 0x7c00, v5, vcc_lo
	v_cmp_eq_u32_e32 vcc_lo, 0x40f, v11
	s_wait_alu 0xfffd
	v_cndmask_b32_e32 v3, v12, v3, vcc_lo
	v_cmp_eq_u32_e32 vcc_lo, 0x40f, v13
	s_delay_alu instid0(VALU_DEP_2)
	v_and_or_b32 v3, 0x8000, v4, v3
	s_wait_alu 0xfffd
	v_cndmask_b32_e32 v5, v5, v9, vcc_lo
	v_add_co_u32 v0, vcc_lo, v0, s6
	s_wait_alu 0xfffd
	v_add_co_ci_u32_e32 v1, vcc_lo, s7, v1, vcc_lo
	s_delay_alu instid0(VALU_DEP_3) | instskip(SKIP_1) | instid1(VALU_DEP_1)
	v_and_or_b32 v4, 0x8000, v10, v5
	v_and_b32_e32 v3, 0xffff, v3
	v_lshl_or_b32 v3, v4, 16, v3
	global_store_b32 v[0:1], v3, off
	global_load_b32 v5, v[40:41], off offset:1356
	ds_load_2addr_b32 v[3:4], v8 offset0:83 offset1:158
	s_wait_dscnt 0x0
	v_lshrrev_b32_e32 v8, 16, v3
	s_wait_loadcnt 0x0
	v_lshrrev_b32_e32 v9, 16, v5
	s_delay_alu instid0(VALU_DEP_1) | instskip(SKIP_1) | instid1(VALU_DEP_2)
	v_mul_f16_e32 v10, v8, v9
	v_mul_f16_e32 v9, v3, v9
	v_fmac_f16_e32 v10, v3, v5
	s_delay_alu instid0(VALU_DEP_2) | instskip(NEXT) | instid1(VALU_DEP_2)
	v_fma_f16 v3, v5, v8, -v9
	v_cvt_f32_f16_e32 v5, v10
	s_delay_alu instid0(VALU_DEP_2) | instskip(NEXT) | instid1(VALU_DEP_2)
	v_cvt_f32_f16_e32 v3, v3
	v_cvt_f64_f32_e32 v[8:9], v5
	s_delay_alu instid0(VALU_DEP_2) | instskip(NEXT) | instid1(VALU_DEP_2)
	v_cvt_f64_f32_e32 v[10:11], v3
	v_mul_f64_e32 v[8:9], s[8:9], v[8:9]
	s_delay_alu instid0(VALU_DEP_2) | instskip(NEXT) | instid1(VALU_DEP_2)
	v_mul_f64_e32 v[10:11], s[8:9], v[10:11]
	v_and_or_b32 v3, 0x1ff, v9, v8
	s_delay_alu instid0(VALU_DEP_2)
	v_and_or_b32 v10, 0x1ff, v11, v10
	v_lshrrev_b32_e32 v5, 8, v9
	v_bfe_u32 v8, v9, 20, 11
	v_lshrrev_b32_e32 v12, 8, v11
	v_cmp_ne_u32_e32 vcc_lo, 0, v3
	v_bfe_u32 v13, v11, 20, 11
	v_lshrrev_b32_e32 v9, 16, v9
	v_sub_nc_u32_e32 v14, 0x3f1, v8
	v_add_nc_u32_e32 v8, 0xfffffc10, v8
	s_wait_alu 0xfffd
	v_cndmask_b32_e64 v3, 0, 1, vcc_lo
	v_cmp_ne_u32_e32 vcc_lo, 0, v10
	s_delay_alu instid0(VALU_DEP_2) | instskip(SKIP_4) | instid1(VALU_DEP_3)
	v_and_or_b32 v3, 0xffe, v5, v3
	s_wait_alu 0xfffd
	v_cndmask_b32_e64 v10, 0, 1, vcc_lo
	v_sub_nc_u32_e32 v5, 0x3f1, v13
	v_add_nc_u32_e32 v13, 0xfffffc10, v13
	v_and_or_b32 v10, 0xffe, v12, v10
	v_med3_i32 v12, v14, 0, 13
	v_or_b32_e32 v14, 0x1000, v3
	v_med3_i32 v5, v5, 0, 13
	s_delay_alu instid0(VALU_DEP_4) | instskip(NEXT) | instid1(VALU_DEP_3)
	v_or_b32_e32 v15, 0x1000, v10
	v_lshrrev_b32_e32 v16, v12, v14
	s_delay_alu instid0(VALU_DEP_2) | instskip(NEXT) | instid1(VALU_DEP_2)
	v_lshrrev_b32_e32 v17, v5, v15
	v_lshlrev_b32_e32 v12, v12, v16
	s_delay_alu instid0(VALU_DEP_2) | instskip(NEXT) | instid1(VALU_DEP_2)
	v_lshlrev_b32_e32 v5, v5, v17
	v_cmp_ne_u32_e32 vcc_lo, v12, v14
	v_lshl_or_b32 v14, v8, 12, v3
	s_wait_alu 0xfffd
	v_cndmask_b32_e64 v12, 0, 1, vcc_lo
	v_cmp_ne_u32_e32 vcc_lo, v5, v15
	v_lshl_or_b32 v15, v13, 12, v10
	s_delay_alu instid0(VALU_DEP_3) | instskip(SKIP_3) | instid1(VALU_DEP_2)
	v_or_b32_e32 v12, v16, v12
	s_wait_alu 0xfffd
	v_cndmask_b32_e64 v5, 0, 1, vcc_lo
	v_cmp_gt_i32_e32 vcc_lo, 1, v8
	v_or_b32_e32 v5, v17, v5
	s_wait_alu 0xfffd
	v_cndmask_b32_e32 v12, v14, v12, vcc_lo
	v_cmp_gt_i32_e32 vcc_lo, 1, v13
	s_wait_alu 0xfffd
	s_delay_alu instid0(VALU_DEP_2) | instskip(SKIP_2) | instid1(VALU_DEP_3)
	v_dual_cndmask_b32 v5, v15, v5 :: v_dual_and_b32 v14, 7, v12
	v_cmp_ne_u32_e32 vcc_lo, 0, v3
	v_lshrrev_b32_e32 v12, 2, v12
	v_cmp_eq_u32_e64 s0, 3, v14
	s_delay_alu instid0(VALU_DEP_4)
	v_and_b32_e32 v15, 7, v5
	s_wait_alu 0xfffd
	v_cndmask_b32_e64 v3, 0, 1, vcc_lo
	v_cmp_ne_u32_e32 vcc_lo, 0, v10
	v_lshrrev_b32_e32 v5, 2, v5
	v_cmp_lt_i32_e64 s1, 5, v15
	v_cmp_eq_u32_e64 s2, 3, v15
	s_wait_alu 0xfffd
	v_cndmask_b32_e64 v10, 0, 1, vcc_lo
	v_cmp_lt_i32_e32 vcc_lo, 5, v14
	v_lshl_or_b32 v3, v3, 9, 0x7c00
	s_delay_alu instid0(VALU_DEP_3)
	v_lshl_or_b32 v10, v10, 9, 0x7c00
	s_or_b32 vcc_lo, s0, vcc_lo
	s_wait_alu 0xfffe
	v_add_co_ci_u32_e32 v12, vcc_lo, 0, v12, vcc_lo
	s_or_b32 vcc_lo, s2, s1
	s_wait_alu 0xfffe
	v_add_co_ci_u32_e32 v5, vcc_lo, 0, v5, vcc_lo
	v_cmp_gt_i32_e32 vcc_lo, 31, v8
	s_wait_alu 0xfffd
	v_cndmask_b32_e32 v12, 0x7c00, v12, vcc_lo
	v_cmp_gt_i32_e32 vcc_lo, 31, v13
	s_wait_alu 0xfffd
	v_cndmask_b32_e32 v5, 0x7c00, v5, vcc_lo
	v_cmp_eq_u32_e32 vcc_lo, 0x40f, v8
	v_lshrrev_b32_e32 v8, 16, v11
	s_wait_alu 0xfffd
	v_cndmask_b32_e32 v3, v12, v3, vcc_lo
	v_cmp_eq_u32_e32 vcc_lo, 0x40f, v13
	s_delay_alu instid0(VALU_DEP_2)
	v_and_or_b32 v3, 0x8000, v9, v3
	s_wait_alu 0xfffd
	v_cndmask_b32_e32 v5, v5, v10, vcc_lo
	v_add_co_u32 v0, vcc_lo, v0, s6
	s_wait_alu 0xfffd
	v_add_co_ci_u32_e32 v1, vcc_lo, s7, v1, vcc_lo
	s_delay_alu instid0(VALU_DEP_3) | instskip(SKIP_1) | instid1(VALU_DEP_1)
	v_and_or_b32 v5, 0x8000, v8, v5
	v_and_b32_e32 v3, 0xffff, v3
	v_lshl_or_b32 v3, v5, 16, v3
	v_lshrrev_b32_e32 v5, 16, v4
	global_store_b32 v[0:1], v3, off
	global_load_b32 v3, v[40:41], off offset:1656
	s_wait_loadcnt 0x0
	v_lshrrev_b32_e32 v8, 16, v3
	s_delay_alu instid0(VALU_DEP_1) | instskip(SKIP_1) | instid1(VALU_DEP_2)
	v_mul_f16_e32 v9, v5, v8
	v_mul_f16_e32 v8, v4, v8
	v_fmac_f16_e32 v9, v4, v3
	s_delay_alu instid0(VALU_DEP_2) | instskip(NEXT) | instid1(VALU_DEP_2)
	v_fma_f16 v3, v3, v5, -v8
	v_cvt_f32_f16_e32 v4, v9
	s_delay_alu instid0(VALU_DEP_2) | instskip(NEXT) | instid1(VALU_DEP_2)
	v_cvt_f32_f16_e32 v5, v3
	v_cvt_f64_f32_e32 v[3:4], v4
	s_delay_alu instid0(VALU_DEP_2) | instskip(NEXT) | instid1(VALU_DEP_2)
	v_cvt_f64_f32_e32 v[8:9], v5
	v_mul_f64_e32 v[3:4], s[8:9], v[3:4]
	s_delay_alu instid0(VALU_DEP_2) | instskip(NEXT) | instid1(VALU_DEP_2)
	v_mul_f64_e32 v[8:9], s[8:9], v[8:9]
	v_and_or_b32 v3, 0x1ff, v4, v3
	s_delay_alu instid0(VALU_DEP_2)
	v_and_or_b32 v8, 0x1ff, v9, v8
	v_lshrrev_b32_e32 v5, 8, v4
	v_bfe_u32 v10, v4, 20, 11
	v_lshrrev_b32_e32 v11, 8, v9
	v_cmp_ne_u32_e32 vcc_lo, 0, v3
	v_bfe_u32 v12, v9, 20, 11
	v_lshrrev_b32_e32 v4, 16, v4
	v_sub_nc_u32_e32 v13, 0x3f1, v10
	v_add_nc_u32_e32 v10, 0xfffffc10, v10
	s_wait_alu 0xfffd
	v_cndmask_b32_e64 v3, 0, 1, vcc_lo
	v_cmp_ne_u32_e32 vcc_lo, 0, v8
	v_lshrrev_b32_e32 v9, 16, v9
	s_delay_alu instid0(VALU_DEP_3) | instskip(SKIP_4) | instid1(VALU_DEP_3)
	v_and_or_b32 v3, 0xffe, v5, v3
	s_wait_alu 0xfffd
	v_cndmask_b32_e64 v8, 0, 1, vcc_lo
	v_sub_nc_u32_e32 v5, 0x3f1, v12
	v_add_nc_u32_e32 v12, 0xfffffc10, v12
	v_and_or_b32 v8, 0xffe, v11, v8
	v_med3_i32 v11, v13, 0, 13
	v_or_b32_e32 v13, 0x1000, v3
	v_med3_i32 v5, v5, 0, 13
	s_delay_alu instid0(VALU_DEP_4) | instskip(NEXT) | instid1(VALU_DEP_3)
	v_or_b32_e32 v14, 0x1000, v8
	v_lshrrev_b32_e32 v15, v11, v13
	s_delay_alu instid0(VALU_DEP_2) | instskip(NEXT) | instid1(VALU_DEP_2)
	v_lshrrev_b32_e32 v16, v5, v14
	v_lshlrev_b32_e32 v11, v11, v15
	s_delay_alu instid0(VALU_DEP_2) | instskip(NEXT) | instid1(VALU_DEP_2)
	v_lshlrev_b32_e32 v5, v5, v16
	v_cmp_ne_u32_e32 vcc_lo, v11, v13
	v_lshl_or_b32 v13, v10, 12, v3
	s_wait_alu 0xfffd
	v_cndmask_b32_e64 v11, 0, 1, vcc_lo
	v_cmp_ne_u32_e32 vcc_lo, v5, v14
	v_lshl_or_b32 v14, v12, 12, v8
	s_delay_alu instid0(VALU_DEP_3) | instskip(SKIP_3) | instid1(VALU_DEP_2)
	v_or_b32_e32 v11, v15, v11
	s_wait_alu 0xfffd
	v_cndmask_b32_e64 v5, 0, 1, vcc_lo
	v_cmp_gt_i32_e32 vcc_lo, 1, v10
	v_or_b32_e32 v5, v16, v5
	s_wait_alu 0xfffd
	v_cndmask_b32_e32 v11, v13, v11, vcc_lo
	v_cmp_gt_i32_e32 vcc_lo, 1, v12
	s_delay_alu instid0(VALU_DEP_2)
	v_and_b32_e32 v13, 7, v11
	s_wait_alu 0xfffd
	v_cndmask_b32_e32 v5, v14, v5, vcc_lo
	v_cmp_ne_u32_e32 vcc_lo, 0, v3
	v_lshrrev_b32_e32 v11, 2, v11
	v_cmp_eq_u32_e64 s0, 3, v13
	s_delay_alu instid0(VALU_DEP_4)
	v_and_b32_e32 v14, 7, v5
	s_wait_alu 0xfffd
	v_cndmask_b32_e64 v3, 0, 1, vcc_lo
	v_cmp_ne_u32_e32 vcc_lo, 0, v8
	v_lshrrev_b32_e32 v5, 2, v5
	v_cmp_lt_i32_e64 s1, 5, v14
	v_cmp_eq_u32_e64 s2, 3, v14
	s_wait_alu 0xfffd
	v_cndmask_b32_e64 v8, 0, 1, vcc_lo
	v_cmp_lt_i32_e32 vcc_lo, 5, v13
	v_lshl_or_b32 v3, v3, 9, 0x7c00
	s_delay_alu instid0(VALU_DEP_3)
	v_lshl_or_b32 v8, v8, 9, 0x7c00
	s_or_b32 vcc_lo, s0, vcc_lo
	s_wait_alu 0xfffe
	v_add_co_ci_u32_e32 v11, vcc_lo, 0, v11, vcc_lo
	s_or_b32 vcc_lo, s2, s1
	s_wait_alu 0xfffe
	v_add_co_ci_u32_e32 v5, vcc_lo, 0, v5, vcc_lo
	v_cmp_gt_i32_e32 vcc_lo, 31, v10
	s_wait_alu 0xfffd
	v_cndmask_b32_e32 v11, 0x7c00, v11, vcc_lo
	v_cmp_gt_i32_e32 vcc_lo, 31, v12
	s_wait_alu 0xfffd
	v_cndmask_b32_e32 v5, 0x7c00, v5, vcc_lo
	v_cmp_eq_u32_e32 vcc_lo, 0x40f, v10
	s_wait_alu 0xfffd
	v_cndmask_b32_e32 v3, v11, v3, vcc_lo
	v_cmp_eq_u32_e32 vcc_lo, 0x40f, v12
	s_delay_alu instid0(VALU_DEP_2)
	v_and_or_b32 v3, 0x8000, v4, v3
	s_wait_alu 0xfffd
	v_cndmask_b32_e32 v5, v5, v8, vcc_lo
	v_add_co_u32 v0, vcc_lo, v0, s6
	s_wait_alu 0xfffd
	v_add_co_ci_u32_e32 v1, vcc_lo, s7, v1, vcc_lo
	s_delay_alu instid0(VALU_DEP_3) | instskip(SKIP_1) | instid1(VALU_DEP_1)
	v_and_or_b32 v4, 0x8000, v9, v5
	v_and_b32_e32 v3, 0xffff, v3
	v_lshl_or_b32 v3, v4, 16, v3
	global_store_b32 v[0:1], v3, off
	global_load_b32 v4, v[40:41], off offset:1956
	ds_load_2addr_b32 v[2:3], v2 offset0:105 offset1:180
	s_wait_dscnt 0x0
	v_lshrrev_b32_e32 v5, 16, v2
	s_wait_loadcnt 0x0
	v_lshrrev_b32_e32 v8, 16, v4
	s_delay_alu instid0(VALU_DEP_1) | instskip(SKIP_1) | instid1(VALU_DEP_2)
	v_mul_f16_e32 v9, v5, v8
	v_mul_f16_e32 v8, v2, v8
	v_fmac_f16_e32 v9, v2, v4
	s_delay_alu instid0(VALU_DEP_2) | instskip(NEXT) | instid1(VALU_DEP_2)
	v_fma_f16 v2, v4, v5, -v8
	v_cvt_f32_f16_e32 v4, v9
	s_delay_alu instid0(VALU_DEP_2) | instskip(NEXT) | instid1(VALU_DEP_2)
	v_cvt_f32_f16_e32 v2, v2
	v_cvt_f64_f32_e32 v[4:5], v4
	s_delay_alu instid0(VALU_DEP_2) | instskip(NEXT) | instid1(VALU_DEP_2)
	v_cvt_f64_f32_e32 v[8:9], v2
	v_mul_f64_e32 v[4:5], s[8:9], v[4:5]
	s_delay_alu instid0(VALU_DEP_2) | instskip(NEXT) | instid1(VALU_DEP_2)
	v_mul_f64_e32 v[8:9], s[8:9], v[8:9]
	v_and_or_b32 v2, 0x1ff, v5, v4
	s_delay_alu instid0(VALU_DEP_2)
	v_and_or_b32 v8, 0x1ff, v9, v8
	v_lshrrev_b32_e32 v4, 8, v5
	v_bfe_u32 v10, v5, 20, 11
	v_lshrrev_b32_e32 v11, 8, v9
	v_cmp_ne_u32_e32 vcc_lo, 0, v2
	v_bfe_u32 v12, v9, 20, 11
	v_lshrrev_b32_e32 v5, 16, v5
	v_sub_nc_u32_e32 v13, 0x3f1, v10
	v_add_nc_u32_e32 v10, 0xfffffc10, v10
	s_wait_alu 0xfffd
	v_cndmask_b32_e64 v2, 0, 1, vcc_lo
	v_cmp_ne_u32_e32 vcc_lo, 0, v8
	v_lshrrev_b32_e32 v9, 16, v9
	s_delay_alu instid0(VALU_DEP_3) | instskip(SKIP_4) | instid1(VALU_DEP_3)
	v_and_or_b32 v2, 0xffe, v4, v2
	s_wait_alu 0xfffd
	v_cndmask_b32_e64 v8, 0, 1, vcc_lo
	v_sub_nc_u32_e32 v4, 0x3f1, v12
	v_add_nc_u32_e32 v12, 0xfffffc10, v12
	v_and_or_b32 v8, 0xffe, v11, v8
	v_med3_i32 v11, v13, 0, 13
	v_or_b32_e32 v13, 0x1000, v2
	v_med3_i32 v4, v4, 0, 13
	s_delay_alu instid0(VALU_DEP_4) | instskip(NEXT) | instid1(VALU_DEP_3)
	v_or_b32_e32 v14, 0x1000, v8
	v_lshrrev_b32_e32 v15, v11, v13
	s_delay_alu instid0(VALU_DEP_2) | instskip(NEXT) | instid1(VALU_DEP_2)
	v_lshrrev_b32_e32 v16, v4, v14
	v_lshlrev_b32_e32 v11, v11, v15
	s_delay_alu instid0(VALU_DEP_2) | instskip(NEXT) | instid1(VALU_DEP_2)
	v_lshlrev_b32_e32 v4, v4, v16
	v_cmp_ne_u32_e32 vcc_lo, v11, v13
	v_lshl_or_b32 v13, v10, 12, v2
	s_wait_alu 0xfffd
	v_cndmask_b32_e64 v11, 0, 1, vcc_lo
	v_cmp_ne_u32_e32 vcc_lo, v4, v14
	v_lshl_or_b32 v14, v12, 12, v8
	s_delay_alu instid0(VALU_DEP_3) | instskip(SKIP_3) | instid1(VALU_DEP_2)
	v_or_b32_e32 v11, v15, v11
	s_wait_alu 0xfffd
	v_cndmask_b32_e64 v4, 0, 1, vcc_lo
	v_cmp_gt_i32_e32 vcc_lo, 1, v10
	v_or_b32_e32 v4, v16, v4
	s_wait_alu 0xfffd
	v_cndmask_b32_e32 v11, v13, v11, vcc_lo
	v_cmp_gt_i32_e32 vcc_lo, 1, v12
	s_wait_alu 0xfffd
	s_delay_alu instid0(VALU_DEP_2) | instskip(SKIP_2) | instid1(VALU_DEP_3)
	v_dual_cndmask_b32 v4, v14, v4 :: v_dual_and_b32 v13, 7, v11
	v_cmp_ne_u32_e32 vcc_lo, 0, v2
	v_lshrrev_b32_e32 v11, 2, v11
	v_cmp_eq_u32_e64 s0, 3, v13
	s_delay_alu instid0(VALU_DEP_4)
	v_and_b32_e32 v14, 7, v4
	s_wait_alu 0xfffd
	v_cndmask_b32_e64 v2, 0, 1, vcc_lo
	v_cmp_ne_u32_e32 vcc_lo, 0, v8
	v_lshrrev_b32_e32 v4, 2, v4
	v_cmp_lt_i32_e64 s1, 5, v14
	v_cmp_eq_u32_e64 s2, 3, v14
	s_wait_alu 0xfffd
	v_cndmask_b32_e64 v8, 0, 1, vcc_lo
	v_cmp_lt_i32_e32 vcc_lo, 5, v13
	v_lshl_or_b32 v2, v2, 9, 0x7c00
	s_delay_alu instid0(VALU_DEP_3)
	v_lshl_or_b32 v8, v8, 9, 0x7c00
	s_or_b32 vcc_lo, s0, vcc_lo
	s_wait_alu 0xfffe
	v_add_co_ci_u32_e32 v11, vcc_lo, 0, v11, vcc_lo
	s_or_b32 vcc_lo, s2, s1
	s_wait_alu 0xfffe
	v_add_co_ci_u32_e32 v4, vcc_lo, 0, v4, vcc_lo
	v_cmp_gt_i32_e32 vcc_lo, 31, v10
	s_wait_alu 0xfffd
	v_cndmask_b32_e32 v11, 0x7c00, v11, vcc_lo
	v_cmp_gt_i32_e32 vcc_lo, 31, v12
	s_wait_alu 0xfffd
	v_cndmask_b32_e32 v4, 0x7c00, v4, vcc_lo
	v_cmp_eq_u32_e32 vcc_lo, 0x40f, v10
	s_wait_alu 0xfffd
	v_cndmask_b32_e32 v2, v11, v2, vcc_lo
	v_cmp_eq_u32_e32 vcc_lo, 0x40f, v12
	s_delay_alu instid0(VALU_DEP_2)
	v_and_or_b32 v2, 0x8000, v5, v2
	s_wait_alu 0xfffd
	v_cndmask_b32_e32 v4, v4, v8, vcc_lo
	v_add_co_u32 v0, vcc_lo, v0, s6
	s_wait_alu 0xfffd
	v_add_co_ci_u32_e32 v1, vcc_lo, s7, v1, vcc_lo
	s_delay_alu instid0(VALU_DEP_3) | instskip(SKIP_1) | instid1(VALU_DEP_1)
	v_and_or_b32 v4, 0x8000, v9, v4
	v_and_b32_e32 v2, 0xffff, v2
	v_lshl_or_b32 v2, v4, 16, v2
	v_lshrrev_b32_e32 v4, 16, v3
	global_store_b32 v[0:1], v2, off
	global_load_b32 v2, v[40:41], off offset:2256
	s_wait_loadcnt 0x0
	v_lshrrev_b32_e32 v5, 16, v2
	s_delay_alu instid0(VALU_DEP_1) | instskip(SKIP_1) | instid1(VALU_DEP_2)
	v_mul_f16_e32 v8, v4, v5
	v_mul_f16_e32 v5, v3, v5
	v_fmac_f16_e32 v8, v3, v2
	s_delay_alu instid0(VALU_DEP_2) | instskip(NEXT) | instid1(VALU_DEP_2)
	v_fma_f16 v2, v2, v4, -v5
	v_cvt_f32_f16_e32 v3, v8
	s_delay_alu instid0(VALU_DEP_2) | instskip(NEXT) | instid1(VALU_DEP_2)
	v_cvt_f32_f16_e32 v4, v2
	v_cvt_f64_f32_e32 v[2:3], v3
	s_delay_alu instid0(VALU_DEP_2) | instskip(NEXT) | instid1(VALU_DEP_2)
	v_cvt_f64_f32_e32 v[4:5], v4
	v_mul_f64_e32 v[2:3], s[8:9], v[2:3]
	s_delay_alu instid0(VALU_DEP_2) | instskip(NEXT) | instid1(VALU_DEP_2)
	v_mul_f64_e32 v[4:5], s[8:9], v[4:5]
	v_and_or_b32 v2, 0x1ff, v3, v2
	s_delay_alu instid0(VALU_DEP_2)
	v_and_or_b32 v4, 0x1ff, v5, v4
	v_lshrrev_b32_e32 v8, 8, v3
	v_bfe_u32 v9, v3, 20, 11
	v_lshrrev_b32_e32 v10, 8, v5
	v_cmp_ne_u32_e32 vcc_lo, 0, v2
	v_bfe_u32 v11, v5, 20, 11
	v_lshrrev_b32_e32 v3, 16, v3
	v_sub_nc_u32_e32 v12, 0x3f1, v9
	v_add_nc_u32_e32 v9, 0xfffffc10, v9
	s_wait_alu 0xfffd
	v_cndmask_b32_e64 v2, 0, 1, vcc_lo
	v_cmp_ne_u32_e32 vcc_lo, 0, v4
	v_lshrrev_b32_e32 v5, 16, v5
	s_delay_alu instid0(VALU_DEP_3) | instskip(SKIP_4) | instid1(VALU_DEP_3)
	v_and_or_b32 v2, 0xffe, v8, v2
	s_wait_alu 0xfffd
	v_cndmask_b32_e64 v4, 0, 1, vcc_lo
	v_sub_nc_u32_e32 v8, 0x3f1, v11
	v_add_nc_u32_e32 v11, 0xfffffc10, v11
	v_and_or_b32 v4, 0xffe, v10, v4
	v_med3_i32 v10, v12, 0, 13
	v_or_b32_e32 v12, 0x1000, v2
	v_med3_i32 v8, v8, 0, 13
	s_delay_alu instid0(VALU_DEP_4) | instskip(NEXT) | instid1(VALU_DEP_3)
	v_or_b32_e32 v13, 0x1000, v4
	v_lshrrev_b32_e32 v14, v10, v12
	s_delay_alu instid0(VALU_DEP_2) | instskip(NEXT) | instid1(VALU_DEP_2)
	v_lshrrev_b32_e32 v15, v8, v13
	v_lshlrev_b32_e32 v10, v10, v14
	s_delay_alu instid0(VALU_DEP_2) | instskip(NEXT) | instid1(VALU_DEP_2)
	v_lshlrev_b32_e32 v8, v8, v15
	v_cmp_ne_u32_e32 vcc_lo, v10, v12
	v_lshl_or_b32 v12, v9, 12, v2
	s_wait_alu 0xfffd
	v_cndmask_b32_e64 v10, 0, 1, vcc_lo
	v_cmp_ne_u32_e32 vcc_lo, v8, v13
	v_lshl_or_b32 v13, v11, 12, v4
	s_delay_alu instid0(VALU_DEP_3) | instskip(SKIP_3) | instid1(VALU_DEP_2)
	v_or_b32_e32 v10, v14, v10
	s_wait_alu 0xfffd
	v_cndmask_b32_e64 v8, 0, 1, vcc_lo
	v_cmp_gt_i32_e32 vcc_lo, 1, v9
	v_or_b32_e32 v8, v15, v8
	s_wait_alu 0xfffd
	v_cndmask_b32_e32 v10, v12, v10, vcc_lo
	v_cmp_gt_i32_e32 vcc_lo, 1, v11
	s_delay_alu instid0(VALU_DEP_2)
	v_and_b32_e32 v12, 7, v10
	s_wait_alu 0xfffd
	v_cndmask_b32_e32 v8, v13, v8, vcc_lo
	v_cmp_ne_u32_e32 vcc_lo, 0, v2
	v_lshrrev_b32_e32 v10, 2, v10
	v_cmp_eq_u32_e64 s0, 3, v12
	s_delay_alu instid0(VALU_DEP_4)
	v_and_b32_e32 v13, 7, v8
	s_wait_alu 0xfffd
	v_cndmask_b32_e64 v2, 0, 1, vcc_lo
	v_cmp_ne_u32_e32 vcc_lo, 0, v4
	v_lshrrev_b32_e32 v8, 2, v8
	v_cmp_lt_i32_e64 s1, 5, v13
	v_cmp_eq_u32_e64 s2, 3, v13
	s_wait_alu 0xfffd
	v_cndmask_b32_e64 v4, 0, 1, vcc_lo
	v_cmp_lt_i32_e32 vcc_lo, 5, v12
	v_lshl_or_b32 v2, v2, 9, 0x7c00
	s_delay_alu instid0(VALU_DEP_3)
	v_lshl_or_b32 v4, v4, 9, 0x7c00
	s_or_b32 vcc_lo, s0, vcc_lo
	s_wait_alu 0xfffe
	v_add_co_ci_u32_e32 v10, vcc_lo, 0, v10, vcc_lo
	s_or_b32 vcc_lo, s2, s1
	s_wait_alu 0xfffe
	v_add_co_ci_u32_e32 v8, vcc_lo, 0, v8, vcc_lo
	v_cmp_gt_i32_e32 vcc_lo, 31, v9
	s_wait_alu 0xfffd
	v_cndmask_b32_e32 v10, 0x7c00, v10, vcc_lo
	v_cmp_gt_i32_e32 vcc_lo, 31, v11
	s_wait_alu 0xfffd
	v_cndmask_b32_e32 v8, 0x7c00, v8, vcc_lo
	v_cmp_eq_u32_e32 vcc_lo, 0x40f, v9
	s_wait_alu 0xfffd
	v_cndmask_b32_e32 v2, v10, v2, vcc_lo
	v_cmp_eq_u32_e32 vcc_lo, 0x40f, v11
	s_delay_alu instid0(VALU_DEP_2)
	v_and_or_b32 v2, 0x8000, v3, v2
	s_wait_alu 0xfffd
	v_cndmask_b32_e32 v4, v8, v4, vcc_lo
	v_add_co_u32 v0, vcc_lo, v0, s6
	s_wait_alu 0xfffd
	v_add_co_ci_u32_e32 v1, vcc_lo, s7, v1, vcc_lo
	s_delay_alu instid0(VALU_DEP_3) | instskip(SKIP_1) | instid1(VALU_DEP_1)
	v_and_or_b32 v3, 0x8000, v5, v4
	v_and_b32_e32 v2, 0xffff, v2
	v_lshl_or_b32 v2, v3, 16, v2
	global_store_b32 v[0:1], v2, off
	global_load_b32 v4, v[40:41], off offset:2556
	ds_load_2addr_b32 v[2:3], v7 offset0:127 offset1:202
	s_wait_dscnt 0x0
	v_lshrrev_b32_e32 v5, 16, v2
	s_wait_loadcnt 0x0
	v_lshrrev_b32_e32 v7, 16, v4
	s_delay_alu instid0(VALU_DEP_1) | instskip(SKIP_1) | instid1(VALU_DEP_2)
	v_mul_f16_e32 v8, v5, v7
	v_mul_f16_e32 v7, v2, v7
	v_fmac_f16_e32 v8, v2, v4
	s_delay_alu instid0(VALU_DEP_2) | instskip(NEXT) | instid1(VALU_DEP_2)
	v_fma_f16 v2, v4, v5, -v7
	v_cvt_f32_f16_e32 v4, v8
	s_delay_alu instid0(VALU_DEP_2) | instskip(NEXT) | instid1(VALU_DEP_2)
	v_cvt_f32_f16_e32 v2, v2
	v_cvt_f64_f32_e32 v[4:5], v4
	s_delay_alu instid0(VALU_DEP_2) | instskip(NEXT) | instid1(VALU_DEP_2)
	v_cvt_f64_f32_e32 v[7:8], v2
	v_mul_f64_e32 v[4:5], s[8:9], v[4:5]
	s_delay_alu instid0(VALU_DEP_2) | instskip(NEXT) | instid1(VALU_DEP_2)
	v_mul_f64_e32 v[7:8], s[8:9], v[7:8]
	v_and_or_b32 v2, 0x1ff, v5, v4
	s_delay_alu instid0(VALU_DEP_2)
	v_and_or_b32 v7, 0x1ff, v8, v7
	v_lshrrev_b32_e32 v4, 8, v5
	v_bfe_u32 v9, v5, 20, 11
	v_lshrrev_b32_e32 v10, 8, v8
	v_cmp_ne_u32_e32 vcc_lo, 0, v2
	v_bfe_u32 v11, v8, 20, 11
	v_lshrrev_b32_e32 v5, 16, v5
	v_sub_nc_u32_e32 v12, 0x3f1, v9
	v_add_nc_u32_e32 v9, 0xfffffc10, v9
	s_wait_alu 0xfffd
	v_cndmask_b32_e64 v2, 0, 1, vcc_lo
	v_cmp_ne_u32_e32 vcc_lo, 0, v7
	v_lshrrev_b32_e32 v8, 16, v8
	s_delay_alu instid0(VALU_DEP_3) | instskip(SKIP_4) | instid1(VALU_DEP_3)
	v_and_or_b32 v2, 0xffe, v4, v2
	s_wait_alu 0xfffd
	v_cndmask_b32_e64 v7, 0, 1, vcc_lo
	v_sub_nc_u32_e32 v4, 0x3f1, v11
	v_add_nc_u32_e32 v11, 0xfffffc10, v11
	v_and_or_b32 v7, 0xffe, v10, v7
	v_med3_i32 v10, v12, 0, 13
	v_or_b32_e32 v12, 0x1000, v2
	v_med3_i32 v4, v4, 0, 13
	s_delay_alu instid0(VALU_DEP_4) | instskip(NEXT) | instid1(VALU_DEP_3)
	v_or_b32_e32 v13, 0x1000, v7
	v_lshrrev_b32_e32 v14, v10, v12
	s_delay_alu instid0(VALU_DEP_2) | instskip(NEXT) | instid1(VALU_DEP_2)
	v_lshrrev_b32_e32 v15, v4, v13
	v_lshlrev_b32_e32 v10, v10, v14
	s_delay_alu instid0(VALU_DEP_2) | instskip(NEXT) | instid1(VALU_DEP_2)
	v_lshlrev_b32_e32 v4, v4, v15
	v_cmp_ne_u32_e32 vcc_lo, v10, v12
	v_lshl_or_b32 v12, v9, 12, v2
	s_wait_alu 0xfffd
	v_cndmask_b32_e64 v10, 0, 1, vcc_lo
	v_cmp_ne_u32_e32 vcc_lo, v4, v13
	v_lshl_or_b32 v13, v11, 12, v7
	s_delay_alu instid0(VALU_DEP_3) | instskip(SKIP_3) | instid1(VALU_DEP_2)
	v_or_b32_e32 v10, v14, v10
	s_wait_alu 0xfffd
	v_cndmask_b32_e64 v4, 0, 1, vcc_lo
	v_cmp_gt_i32_e32 vcc_lo, 1, v9
	v_or_b32_e32 v4, v15, v4
	s_wait_alu 0xfffd
	v_cndmask_b32_e32 v10, v12, v10, vcc_lo
	v_cmp_gt_i32_e32 vcc_lo, 1, v11
	s_delay_alu instid0(VALU_DEP_2)
	v_and_b32_e32 v12, 7, v10
	s_wait_alu 0xfffd
	v_cndmask_b32_e32 v4, v13, v4, vcc_lo
	v_cmp_ne_u32_e32 vcc_lo, 0, v2
	v_lshrrev_b32_e32 v10, 2, v10
	v_cmp_eq_u32_e64 s0, 3, v12
	s_delay_alu instid0(VALU_DEP_4)
	v_and_b32_e32 v13, 7, v4
	s_wait_alu 0xfffd
	v_cndmask_b32_e64 v2, 0, 1, vcc_lo
	v_cmp_ne_u32_e32 vcc_lo, 0, v7
	v_lshrrev_b32_e32 v4, 2, v4
	v_cmp_lt_i32_e64 s1, 5, v13
	v_cmp_eq_u32_e64 s2, 3, v13
	s_wait_alu 0xfffd
	v_cndmask_b32_e64 v7, 0, 1, vcc_lo
	v_cmp_lt_i32_e32 vcc_lo, 5, v12
	v_lshl_or_b32 v2, v2, 9, 0x7c00
	s_delay_alu instid0(VALU_DEP_3)
	v_lshl_or_b32 v7, v7, 9, 0x7c00
	s_or_b32 vcc_lo, s0, vcc_lo
	s_wait_alu 0xfffe
	v_add_co_ci_u32_e32 v10, vcc_lo, 0, v10, vcc_lo
	s_or_b32 vcc_lo, s2, s1
	s_wait_alu 0xfffe
	v_add_co_ci_u32_e32 v4, vcc_lo, 0, v4, vcc_lo
	v_cmp_gt_i32_e32 vcc_lo, 31, v9
	s_wait_alu 0xfffd
	v_cndmask_b32_e32 v10, 0x7c00, v10, vcc_lo
	v_cmp_gt_i32_e32 vcc_lo, 31, v11
	s_wait_alu 0xfffd
	v_cndmask_b32_e32 v4, 0x7c00, v4, vcc_lo
	v_cmp_eq_u32_e32 vcc_lo, 0x40f, v9
	s_wait_alu 0xfffd
	v_cndmask_b32_e32 v2, v10, v2, vcc_lo
	v_cmp_eq_u32_e32 vcc_lo, 0x40f, v11
	s_delay_alu instid0(VALU_DEP_2)
	v_and_or_b32 v2, 0x8000, v5, v2
	s_wait_alu 0xfffd
	v_cndmask_b32_e32 v4, v4, v7, vcc_lo
	v_add_co_u32 v0, vcc_lo, v0, s6
	s_wait_alu 0xfffd
	v_add_co_ci_u32_e32 v1, vcc_lo, s7, v1, vcc_lo
	s_delay_alu instid0(VALU_DEP_3) | instskip(SKIP_1) | instid1(VALU_DEP_1)
	v_and_or_b32 v4, 0x8000, v8, v4
	v_and_b32_e32 v2, 0xffff, v2
	v_lshl_or_b32 v2, v4, 16, v2
	v_lshrrev_b32_e32 v4, 16, v3
	global_store_b32 v[0:1], v2, off
	global_load_b32 v2, v[40:41], off offset:2856
	s_wait_loadcnt 0x0
	v_lshrrev_b32_e32 v5, 16, v2
	s_delay_alu instid0(VALU_DEP_1) | instskip(SKIP_1) | instid1(VALU_DEP_2)
	v_mul_f16_e32 v7, v4, v5
	v_mul_f16_e32 v5, v3, v5
	v_fmac_f16_e32 v7, v3, v2
	s_delay_alu instid0(VALU_DEP_2) | instskip(NEXT) | instid1(VALU_DEP_2)
	v_fma_f16 v2, v2, v4, -v5
	v_cvt_f32_f16_e32 v3, v7
	s_delay_alu instid0(VALU_DEP_2) | instskip(NEXT) | instid1(VALU_DEP_2)
	v_cvt_f32_f16_e32 v4, v2
	v_cvt_f64_f32_e32 v[2:3], v3
	s_delay_alu instid0(VALU_DEP_2) | instskip(NEXT) | instid1(VALU_DEP_2)
	v_cvt_f64_f32_e32 v[4:5], v4
	v_mul_f64_e32 v[2:3], s[8:9], v[2:3]
	s_delay_alu instid0(VALU_DEP_2) | instskip(NEXT) | instid1(VALU_DEP_2)
	v_mul_f64_e32 v[4:5], s[8:9], v[4:5]
	v_and_or_b32 v2, 0x1ff, v3, v2
	s_delay_alu instid0(VALU_DEP_2)
	v_and_or_b32 v4, 0x1ff, v5, v4
	v_lshrrev_b32_e32 v7, 8, v3
	v_bfe_u32 v8, v3, 20, 11
	v_lshrrev_b32_e32 v9, 8, v5
	v_cmp_ne_u32_e32 vcc_lo, 0, v2
	v_bfe_u32 v10, v5, 20, 11
	v_lshrrev_b32_e32 v3, 16, v3
	v_sub_nc_u32_e32 v11, 0x3f1, v8
	v_add_nc_u32_e32 v8, 0xfffffc10, v8
	s_wait_alu 0xfffd
	v_cndmask_b32_e64 v2, 0, 1, vcc_lo
	v_cmp_ne_u32_e32 vcc_lo, 0, v4
	v_lshrrev_b32_e32 v5, 16, v5
	s_delay_alu instid0(VALU_DEP_3) | instskip(SKIP_4) | instid1(VALU_DEP_3)
	v_and_or_b32 v2, 0xffe, v7, v2
	s_wait_alu 0xfffd
	v_cndmask_b32_e64 v4, 0, 1, vcc_lo
	v_sub_nc_u32_e32 v7, 0x3f1, v10
	v_add_nc_u32_e32 v10, 0xfffffc10, v10
	v_and_or_b32 v4, 0xffe, v9, v4
	v_med3_i32 v9, v11, 0, 13
	v_or_b32_e32 v11, 0x1000, v2
	v_med3_i32 v7, v7, 0, 13
	s_delay_alu instid0(VALU_DEP_4) | instskip(NEXT) | instid1(VALU_DEP_3)
	v_or_b32_e32 v12, 0x1000, v4
	v_lshrrev_b32_e32 v13, v9, v11
	s_delay_alu instid0(VALU_DEP_2) | instskip(NEXT) | instid1(VALU_DEP_2)
	v_lshrrev_b32_e32 v14, v7, v12
	v_lshlrev_b32_e32 v9, v9, v13
	s_delay_alu instid0(VALU_DEP_2) | instskip(NEXT) | instid1(VALU_DEP_2)
	v_lshlrev_b32_e32 v7, v7, v14
	v_cmp_ne_u32_e32 vcc_lo, v9, v11
	v_lshl_or_b32 v11, v8, 12, v2
	s_wait_alu 0xfffd
	v_cndmask_b32_e64 v9, 0, 1, vcc_lo
	v_cmp_ne_u32_e32 vcc_lo, v7, v12
	v_lshl_or_b32 v12, v10, 12, v4
	s_delay_alu instid0(VALU_DEP_3) | instskip(SKIP_3) | instid1(VALU_DEP_2)
	v_or_b32_e32 v9, v13, v9
	s_wait_alu 0xfffd
	v_cndmask_b32_e64 v7, 0, 1, vcc_lo
	v_cmp_gt_i32_e32 vcc_lo, 1, v8
	v_or_b32_e32 v7, v14, v7
	s_wait_alu 0xfffd
	v_cndmask_b32_e32 v9, v11, v9, vcc_lo
	v_cmp_gt_i32_e32 vcc_lo, 1, v10
	s_wait_alu 0xfffd
	v_cndmask_b32_e32 v7, v12, v7, vcc_lo
	v_cmp_ne_u32_e32 vcc_lo, 0, v2
	s_delay_alu instid0(VALU_DEP_2)
	v_and_b32_e32 v12, 7, v7
	s_wait_alu 0xfffd
	v_cndmask_b32_e64 v2, 0, 1, vcc_lo
	v_and_b32_e32 v11, 7, v9
	v_cmp_ne_u32_e32 vcc_lo, 0, v4
	v_lshrrev_b32_e32 v9, 2, v9
	v_cmp_lt_i32_e64 s1, 5, v12
	v_cmp_eq_u32_e64 s2, 3, v12
	v_cmp_eq_u32_e64 s0, 3, v11
	s_wait_alu 0xfffd
	v_cndmask_b32_e64 v4, 0, 1, vcc_lo
	v_cmp_lt_i32_e32 vcc_lo, 5, v11
	v_lshrrev_b32_e32 v7, 2, v7
	v_lshl_or_b32 v2, v2, 9, 0x7c00
	s_delay_alu instid0(VALU_DEP_4)
	v_lshl_or_b32 v4, v4, 9, 0x7c00
	s_or_b32 vcc_lo, s0, vcc_lo
	s_wait_alu 0xfffe
	v_add_co_ci_u32_e32 v9, vcc_lo, 0, v9, vcc_lo
	s_or_b32 vcc_lo, s2, s1
	s_wait_alu 0xfffe
	v_add_co_ci_u32_e32 v7, vcc_lo, 0, v7, vcc_lo
	v_cmp_gt_i32_e32 vcc_lo, 31, v8
	s_wait_alu 0xfffd
	v_cndmask_b32_e32 v9, 0x7c00, v9, vcc_lo
	v_cmp_gt_i32_e32 vcc_lo, 31, v10
	s_wait_alu 0xfffd
	v_cndmask_b32_e32 v7, 0x7c00, v7, vcc_lo
	v_cmp_eq_u32_e32 vcc_lo, 0x40f, v8
	s_wait_alu 0xfffd
	v_cndmask_b32_e32 v2, v9, v2, vcc_lo
	v_cmp_eq_u32_e32 vcc_lo, 0x40f, v10
	s_delay_alu instid0(VALU_DEP_2)
	v_and_or_b32 v2, 0x8000, v3, v2
	s_wait_alu 0xfffd
	v_cndmask_b32_e32 v4, v7, v4, vcc_lo
	v_add_co_u32 v0, vcc_lo, v0, s6
	s_wait_alu 0xfffd
	v_add_co_ci_u32_e32 v1, vcc_lo, s7, v1, vcc_lo
	s_delay_alu instid0(VALU_DEP_3) | instskip(SKIP_1) | instid1(VALU_DEP_1)
	v_and_or_b32 v3, 0x8000, v5, v4
	v_and_b32_e32 v2, 0xffff, v2
	v_lshl_or_b32 v2, v3, 16, v2
	global_store_b32 v[0:1], v2, off
	global_load_b32 v4, v[40:41], off offset:3156
	ds_load_2addr_b32 v[2:3], v6 offset0:21 offset1:96
	s_wait_dscnt 0x0
	v_lshrrev_b32_e32 v5, 16, v2
	s_wait_loadcnt 0x0
	v_lshrrev_b32_e32 v6, 16, v4
	s_delay_alu instid0(VALU_DEP_1) | instskip(SKIP_1) | instid1(VALU_DEP_2)
	v_mul_f16_e32 v7, v5, v6
	v_mul_f16_e32 v6, v2, v6
	v_fmac_f16_e32 v7, v2, v4
	s_delay_alu instid0(VALU_DEP_2) | instskip(NEXT) | instid1(VALU_DEP_2)
	v_fma_f16 v2, v4, v5, -v6
	v_cvt_f32_f16_e32 v4, v7
	s_delay_alu instid0(VALU_DEP_2) | instskip(NEXT) | instid1(VALU_DEP_2)
	v_cvt_f32_f16_e32 v2, v2
	v_cvt_f64_f32_e32 v[4:5], v4
	s_delay_alu instid0(VALU_DEP_2) | instskip(NEXT) | instid1(VALU_DEP_2)
	v_cvt_f64_f32_e32 v[6:7], v2
	v_mul_f64_e32 v[4:5], s[8:9], v[4:5]
	s_delay_alu instid0(VALU_DEP_2) | instskip(NEXT) | instid1(VALU_DEP_2)
	v_mul_f64_e32 v[6:7], s[8:9], v[6:7]
	v_and_or_b32 v2, 0x1ff, v5, v4
	s_delay_alu instid0(VALU_DEP_2)
	v_and_or_b32 v6, 0x1ff, v7, v6
	v_lshrrev_b32_e32 v4, 8, v5
	v_bfe_u32 v8, v5, 20, 11
	v_lshrrev_b32_e32 v9, 8, v7
	v_cmp_ne_u32_e32 vcc_lo, 0, v2
	v_bfe_u32 v10, v7, 20, 11
	v_lshrrev_b32_e32 v5, 16, v5
	v_sub_nc_u32_e32 v11, 0x3f1, v8
	v_lshrrev_b32_e32 v7, 16, v7
	s_wait_alu 0xfffd
	v_cndmask_b32_e64 v2, 0, 1, vcc_lo
	v_cmp_ne_u32_e32 vcc_lo, 0, v6
	s_delay_alu instid0(VALU_DEP_2) | instskip(SKIP_4) | instid1(VALU_DEP_3)
	v_and_or_b32 v2, 0xffe, v4, v2
	s_wait_alu 0xfffd
	v_cndmask_b32_e64 v6, 0, 1, vcc_lo
	v_sub_nc_u32_e32 v4, 0x3f1, v10
	v_add_nc_u32_e32 v10, 0xfffffc10, v10
	v_and_or_b32 v6, 0xffe, v9, v6
	v_med3_i32 v9, v11, 0, 13
	v_or_b32_e32 v11, 0x1000, v2
	v_med3_i32 v4, v4, 0, 13
	s_delay_alu instid0(VALU_DEP_4) | instskip(NEXT) | instid1(VALU_DEP_3)
	v_or_b32_e32 v12, 0x1000, v6
	v_lshrrev_b32_e32 v13, v9, v11
	s_delay_alu instid0(VALU_DEP_2) | instskip(NEXT) | instid1(VALU_DEP_2)
	v_lshrrev_b32_e32 v14, v4, v12
	v_lshlrev_b32_e32 v9, v9, v13
	s_delay_alu instid0(VALU_DEP_2) | instskip(NEXT) | instid1(VALU_DEP_2)
	v_lshlrev_b32_e32 v4, v4, v14
	v_cmp_ne_u32_e32 vcc_lo, v9, v11
	s_wait_alu 0xfffd
	v_cndmask_b32_e64 v9, 0, 1, vcc_lo
	s_delay_alu instid0(VALU_DEP_3) | instskip(SKIP_1) | instid1(VALU_DEP_3)
	v_cmp_ne_u32_e32 vcc_lo, v4, v12
	v_lshl_or_b32 v12, v10, 12, v6
	v_or_b32_e32 v9, v13, v9
	v_add_nc_u32_e32 v8, 0xfffffc10, v8
	s_wait_alu 0xfffd
	v_cndmask_b32_e64 v4, 0, 1, vcc_lo
	s_delay_alu instid0(VALU_DEP_2) | instskip(SKIP_1) | instid1(VALU_DEP_3)
	v_lshl_or_b32 v11, v8, 12, v2
	v_cmp_gt_i32_e32 vcc_lo, 1, v8
	v_or_b32_e32 v4, v14, v4
	s_wait_alu 0xfffd
	s_delay_alu instid0(VALU_DEP_3) | instskip(SKIP_2) | instid1(VALU_DEP_2)
	v_cndmask_b32_e32 v9, v11, v9, vcc_lo
	v_cmp_gt_i32_e32 vcc_lo, 1, v10
	s_wait_alu 0xfffd
	v_dual_cndmask_b32 v4, v12, v4 :: v_dual_and_b32 v11, 7, v9
	v_cmp_ne_u32_e32 vcc_lo, 0, v2
	v_lshrrev_b32_e32 v9, 2, v9
	s_delay_alu instid0(VALU_DEP_3) | instskip(NEXT) | instid1(VALU_DEP_4)
	v_cmp_eq_u32_e64 s0, 3, v11
	v_and_b32_e32 v12, 7, v4
	s_wait_alu 0xfffd
	v_cndmask_b32_e64 v2, 0, 1, vcc_lo
	v_cmp_ne_u32_e32 vcc_lo, 0, v6
	v_lshrrev_b32_e32 v4, 2, v4
	v_cmp_lt_i32_e64 s1, 5, v12
	v_cmp_eq_u32_e64 s2, 3, v12
	s_wait_alu 0xfffd
	v_cndmask_b32_e64 v6, 0, 1, vcc_lo
	v_cmp_lt_i32_e32 vcc_lo, 5, v11
	v_lshl_or_b32 v2, v2, 9, 0x7c00
	s_delay_alu instid0(VALU_DEP_3)
	v_lshl_or_b32 v6, v6, 9, 0x7c00
	s_or_b32 vcc_lo, s0, vcc_lo
	s_wait_alu 0xfffe
	v_add_co_ci_u32_e32 v9, vcc_lo, 0, v9, vcc_lo
	s_or_b32 vcc_lo, s2, s1
	s_wait_alu 0xfffe
	v_add_co_ci_u32_e32 v4, vcc_lo, 0, v4, vcc_lo
	v_cmp_gt_i32_e32 vcc_lo, 31, v8
	s_wait_alu 0xfffd
	v_cndmask_b32_e32 v9, 0x7c00, v9, vcc_lo
	v_cmp_gt_i32_e32 vcc_lo, 31, v10
	s_wait_alu 0xfffd
	v_cndmask_b32_e32 v4, 0x7c00, v4, vcc_lo
	v_cmp_eq_u32_e32 vcc_lo, 0x40f, v8
	s_wait_alu 0xfffd
	v_cndmask_b32_e32 v2, v9, v2, vcc_lo
	v_cmp_eq_u32_e32 vcc_lo, 0x40f, v10
	s_delay_alu instid0(VALU_DEP_2)
	v_and_or_b32 v2, 0x8000, v5, v2
	s_wait_alu 0xfffd
	v_cndmask_b32_e32 v4, v4, v6, vcc_lo
	v_add_co_u32 v0, vcc_lo, v0, s6
	s_wait_alu 0xfffd
	v_add_co_ci_u32_e32 v1, vcc_lo, s7, v1, vcc_lo
	s_delay_alu instid0(VALU_DEP_3) | instskip(SKIP_1) | instid1(VALU_DEP_1)
	v_and_or_b32 v4, 0x8000, v7, v4
	v_and_b32_e32 v2, 0xffff, v2
	v_lshl_or_b32 v2, v4, 16, v2
	v_lshrrev_b32_e32 v4, 16, v3
	global_store_b32 v[0:1], v2, off
	global_load_b32 v2, v[40:41], off offset:3456
	s_wait_loadcnt 0x0
	v_lshrrev_b32_e32 v5, 16, v2
	s_delay_alu instid0(VALU_DEP_1) | instskip(SKIP_1) | instid1(VALU_DEP_2)
	v_mul_f16_e32 v6, v4, v5
	v_mul_f16_e32 v5, v3, v5
	v_fmac_f16_e32 v6, v3, v2
	s_delay_alu instid0(VALU_DEP_2) | instskip(NEXT) | instid1(VALU_DEP_2)
	v_fma_f16 v2, v2, v4, -v5
	v_cvt_f32_f16_e32 v3, v6
	s_delay_alu instid0(VALU_DEP_2) | instskip(NEXT) | instid1(VALU_DEP_2)
	v_cvt_f32_f16_e32 v4, v2
	v_cvt_f64_f32_e32 v[2:3], v3
	s_delay_alu instid0(VALU_DEP_2) | instskip(NEXT) | instid1(VALU_DEP_2)
	v_cvt_f64_f32_e32 v[4:5], v4
	v_mul_f64_e32 v[2:3], s[8:9], v[2:3]
	s_delay_alu instid0(VALU_DEP_2) | instskip(NEXT) | instid1(VALU_DEP_2)
	v_mul_f64_e32 v[4:5], s[8:9], v[4:5]
	v_and_or_b32 v2, 0x1ff, v3, v2
	s_delay_alu instid0(VALU_DEP_2)
	v_and_or_b32 v4, 0x1ff, v5, v4
	v_lshrrev_b32_e32 v6, 8, v3
	v_bfe_u32 v7, v3, 20, 11
	v_lshrrev_b32_e32 v8, 8, v5
	v_cmp_ne_u32_e32 vcc_lo, 0, v2
	v_bfe_u32 v9, v5, 20, 11
	v_lshrrev_b32_e32 v3, 16, v3
	v_sub_nc_u32_e32 v10, 0x3f1, v7
	v_add_nc_u32_e32 v7, 0xfffffc10, v7
	s_wait_alu 0xfffd
	v_cndmask_b32_e64 v2, 0, 1, vcc_lo
	v_cmp_ne_u32_e32 vcc_lo, 0, v4
	v_lshrrev_b32_e32 v5, 16, v5
	s_delay_alu instid0(VALU_DEP_3) | instskip(SKIP_4) | instid1(VALU_DEP_3)
	v_and_or_b32 v2, 0xffe, v6, v2
	s_wait_alu 0xfffd
	v_cndmask_b32_e64 v4, 0, 1, vcc_lo
	v_sub_nc_u32_e32 v6, 0x3f1, v9
	v_add_nc_u32_e32 v9, 0xfffffc10, v9
	v_and_or_b32 v4, 0xffe, v8, v4
	v_med3_i32 v8, v10, 0, 13
	v_or_b32_e32 v10, 0x1000, v2
	v_med3_i32 v6, v6, 0, 13
	s_delay_alu instid0(VALU_DEP_4) | instskip(NEXT) | instid1(VALU_DEP_3)
	v_or_b32_e32 v11, 0x1000, v4
	v_lshrrev_b32_e32 v12, v8, v10
	s_delay_alu instid0(VALU_DEP_2) | instskip(NEXT) | instid1(VALU_DEP_2)
	v_lshrrev_b32_e32 v13, v6, v11
	v_lshlrev_b32_e32 v8, v8, v12
	s_delay_alu instid0(VALU_DEP_2) | instskip(NEXT) | instid1(VALU_DEP_2)
	v_lshlrev_b32_e32 v6, v6, v13
	v_cmp_ne_u32_e32 vcc_lo, v8, v10
	v_lshl_or_b32 v10, v7, 12, v2
	s_wait_alu 0xfffd
	v_cndmask_b32_e64 v8, 0, 1, vcc_lo
	v_cmp_ne_u32_e32 vcc_lo, v6, v11
	v_lshl_or_b32 v11, v9, 12, v4
	s_delay_alu instid0(VALU_DEP_3) | instskip(SKIP_3) | instid1(VALU_DEP_2)
	v_or_b32_e32 v8, v12, v8
	s_wait_alu 0xfffd
	v_cndmask_b32_e64 v6, 0, 1, vcc_lo
	v_cmp_gt_i32_e32 vcc_lo, 1, v7
	v_or_b32_e32 v6, v13, v6
	s_wait_alu 0xfffd
	v_cndmask_b32_e32 v8, v10, v8, vcc_lo
	v_cmp_gt_i32_e32 vcc_lo, 1, v9
	s_delay_alu instid0(VALU_DEP_2)
	v_and_b32_e32 v10, 7, v8
	s_wait_alu 0xfffd
	v_cndmask_b32_e32 v6, v11, v6, vcc_lo
	v_cmp_ne_u32_e32 vcc_lo, 0, v2
	v_lshrrev_b32_e32 v8, 2, v8
	v_cmp_eq_u32_e64 s0, 3, v10
	s_delay_alu instid0(VALU_DEP_4)
	v_and_b32_e32 v11, 7, v6
	s_wait_alu 0xfffd
	v_cndmask_b32_e64 v2, 0, 1, vcc_lo
	v_cmp_ne_u32_e32 vcc_lo, 0, v4
	v_lshrrev_b32_e32 v6, 2, v6
	v_cmp_lt_i32_e64 s1, 5, v11
	v_cmp_eq_u32_e64 s2, 3, v11
	s_wait_alu 0xfffd
	v_cndmask_b32_e64 v4, 0, 1, vcc_lo
	v_cmp_lt_i32_e32 vcc_lo, 5, v10
	v_lshl_or_b32 v2, v2, 9, 0x7c00
	s_delay_alu instid0(VALU_DEP_3)
	v_lshl_or_b32 v4, v4, 9, 0x7c00
	s_or_b32 vcc_lo, s0, vcc_lo
	s_wait_alu 0xfffe
	v_add_co_ci_u32_e32 v8, vcc_lo, 0, v8, vcc_lo
	s_or_b32 vcc_lo, s2, s1
	s_wait_alu 0xfffe
	v_add_co_ci_u32_e32 v6, vcc_lo, 0, v6, vcc_lo
	v_cmp_gt_i32_e32 vcc_lo, 31, v7
	s_wait_alu 0xfffd
	v_cndmask_b32_e32 v8, 0x7c00, v8, vcc_lo
	v_cmp_gt_i32_e32 vcc_lo, 31, v9
	s_wait_alu 0xfffd
	v_cndmask_b32_e32 v6, 0x7c00, v6, vcc_lo
	v_cmp_eq_u32_e32 vcc_lo, 0x40f, v7
	s_wait_alu 0xfffd
	v_cndmask_b32_e32 v2, v8, v2, vcc_lo
	v_cmp_eq_u32_e32 vcc_lo, 0x40f, v9
	s_delay_alu instid0(VALU_DEP_2)
	v_and_or_b32 v2, 0x8000, v3, v2
	s_wait_alu 0xfffd
	v_cndmask_b32_e32 v4, v6, v4, vcc_lo
	v_add_co_u32 v0, vcc_lo, v0, s6
	s_wait_alu 0xfffd
	v_add_co_ci_u32_e32 v1, vcc_lo, s7, v1, vcc_lo
	s_delay_alu instid0(VALU_DEP_3) | instskip(SKIP_1) | instid1(VALU_DEP_1)
	v_and_or_b32 v3, 0x8000, v5, v4
	v_and_b32_e32 v2, 0xffff, v2
	v_lshl_or_b32 v2, v3, 16, v2
	ds_load_b32 v3, v89 offset:3756
	global_store_b32 v[0:1], v2, off
	global_load_b32 v2, v[40:41], off offset:3756
	s_wait_dscnt 0x0
	v_lshrrev_b32_e32 v4, 16, v3
	s_wait_loadcnt 0x0
	v_lshrrev_b32_e32 v5, 16, v2
	s_delay_alu instid0(VALU_DEP_1) | instskip(SKIP_1) | instid1(VALU_DEP_2)
	v_mul_f16_e32 v6, v4, v5
	v_mul_f16_e32 v5, v3, v5
	v_fmac_f16_e32 v6, v3, v2
	s_delay_alu instid0(VALU_DEP_2) | instskip(NEXT) | instid1(VALU_DEP_2)
	v_fma_f16 v2, v2, v4, -v5
	v_cvt_f32_f16_e32 v3, v6
	s_delay_alu instid0(VALU_DEP_2) | instskip(NEXT) | instid1(VALU_DEP_2)
	v_cvt_f32_f16_e32 v4, v2
	v_cvt_f64_f32_e32 v[2:3], v3
	s_delay_alu instid0(VALU_DEP_2) | instskip(NEXT) | instid1(VALU_DEP_2)
	v_cvt_f64_f32_e32 v[4:5], v4
	v_mul_f64_e32 v[2:3], s[8:9], v[2:3]
	s_delay_alu instid0(VALU_DEP_2) | instskip(NEXT) | instid1(VALU_DEP_2)
	v_mul_f64_e32 v[4:5], s[8:9], v[4:5]
	v_and_or_b32 v2, 0x1ff, v3, v2
	s_delay_alu instid0(VALU_DEP_2)
	v_and_or_b32 v4, 0x1ff, v5, v4
	v_lshrrev_b32_e32 v6, 8, v3
	v_bfe_u32 v7, v3, 20, 11
	v_lshrrev_b32_e32 v8, 8, v5
	v_cmp_ne_u32_e32 vcc_lo, 0, v2
	v_bfe_u32 v9, v5, 20, 11
	v_lshrrev_b32_e32 v3, 16, v3
	v_sub_nc_u32_e32 v10, 0x3f1, v7
	v_add_nc_u32_e32 v7, 0xfffffc10, v7
	s_wait_alu 0xfffd
	v_cndmask_b32_e64 v2, 0, 1, vcc_lo
	v_cmp_ne_u32_e32 vcc_lo, 0, v4
	v_lshrrev_b32_e32 v5, 16, v5
	s_delay_alu instid0(VALU_DEP_3) | instskip(SKIP_4) | instid1(VALU_DEP_3)
	v_and_or_b32 v2, 0xffe, v6, v2
	s_wait_alu 0xfffd
	v_cndmask_b32_e64 v4, 0, 1, vcc_lo
	v_sub_nc_u32_e32 v6, 0x3f1, v9
	v_add_nc_u32_e32 v9, 0xfffffc10, v9
	v_and_or_b32 v4, 0xffe, v8, v4
	v_med3_i32 v8, v10, 0, 13
	v_or_b32_e32 v10, 0x1000, v2
	v_med3_i32 v6, v6, 0, 13
	s_delay_alu instid0(VALU_DEP_4) | instskip(NEXT) | instid1(VALU_DEP_3)
	v_or_b32_e32 v11, 0x1000, v4
	v_lshrrev_b32_e32 v12, v8, v10
	s_delay_alu instid0(VALU_DEP_2) | instskip(NEXT) | instid1(VALU_DEP_2)
	v_lshrrev_b32_e32 v13, v6, v11
	v_lshlrev_b32_e32 v8, v8, v12
	s_delay_alu instid0(VALU_DEP_2) | instskip(NEXT) | instid1(VALU_DEP_2)
	v_lshlrev_b32_e32 v6, v6, v13
	v_cmp_ne_u32_e32 vcc_lo, v8, v10
	v_lshl_or_b32 v10, v7, 12, v2
	s_wait_alu 0xfffd
	v_cndmask_b32_e64 v8, 0, 1, vcc_lo
	v_cmp_ne_u32_e32 vcc_lo, v6, v11
	v_lshl_or_b32 v11, v9, 12, v4
	s_delay_alu instid0(VALU_DEP_3) | instskip(SKIP_3) | instid1(VALU_DEP_2)
	v_or_b32_e32 v8, v12, v8
	s_wait_alu 0xfffd
	v_cndmask_b32_e64 v6, 0, 1, vcc_lo
	v_cmp_gt_i32_e32 vcc_lo, 1, v7
	v_or_b32_e32 v6, v13, v6
	s_wait_alu 0xfffd
	v_cndmask_b32_e32 v8, v10, v8, vcc_lo
	v_cmp_gt_i32_e32 vcc_lo, 1, v9
	s_delay_alu instid0(VALU_DEP_2)
	v_and_b32_e32 v10, 7, v8
	s_wait_alu 0xfffd
	v_cndmask_b32_e32 v6, v11, v6, vcc_lo
	v_cmp_ne_u32_e32 vcc_lo, 0, v2
	v_lshrrev_b32_e32 v8, 2, v8
	v_cmp_eq_u32_e64 s0, 3, v10
	s_delay_alu instid0(VALU_DEP_4)
	v_and_b32_e32 v11, 7, v6
	s_wait_alu 0xfffd
	v_cndmask_b32_e64 v2, 0, 1, vcc_lo
	v_cmp_ne_u32_e32 vcc_lo, 0, v4
	v_lshrrev_b32_e32 v6, 2, v6
	v_cmp_lt_i32_e64 s1, 5, v11
	v_cmp_eq_u32_e64 s2, 3, v11
	s_wait_alu 0xfffd
	v_cndmask_b32_e64 v4, 0, 1, vcc_lo
	v_cmp_lt_i32_e32 vcc_lo, 5, v10
	v_lshl_or_b32 v2, v2, 9, 0x7c00
	s_delay_alu instid0(VALU_DEP_3)
	v_lshl_or_b32 v4, v4, 9, 0x7c00
	s_or_b32 vcc_lo, s0, vcc_lo
	s_wait_alu 0xfffe
	v_add_co_ci_u32_e32 v8, vcc_lo, 0, v8, vcc_lo
	s_or_b32 vcc_lo, s2, s1
	s_wait_alu 0xfffe
	v_add_co_ci_u32_e32 v6, vcc_lo, 0, v6, vcc_lo
	v_cmp_gt_i32_e32 vcc_lo, 31, v7
	s_wait_alu 0xfffd
	v_cndmask_b32_e32 v8, 0x7c00, v8, vcc_lo
	v_cmp_gt_i32_e32 vcc_lo, 31, v9
	s_wait_alu 0xfffd
	v_cndmask_b32_e32 v6, 0x7c00, v6, vcc_lo
	v_cmp_eq_u32_e32 vcc_lo, 0x40f, v7
	s_wait_alu 0xfffd
	v_cndmask_b32_e32 v2, v8, v2, vcc_lo
	v_cmp_eq_u32_e32 vcc_lo, 0x40f, v9
	s_delay_alu instid0(VALU_DEP_2)
	v_and_or_b32 v2, 0x8000, v3, v2
	s_wait_alu 0xfffd
	v_cndmask_b32_e32 v4, v6, v4, vcc_lo
	v_add_co_u32 v0, vcc_lo, v0, s6
	s_wait_alu 0xfffd
	v_add_co_ci_u32_e32 v1, vcc_lo, s7, v1, vcc_lo
	s_delay_alu instid0(VALU_DEP_3) | instskip(SKIP_1) | instid1(VALU_DEP_1)
	v_and_or_b32 v3, 0x8000, v5, v4
	v_and_b32_e32 v2, 0xffff, v2
	v_lshl_or_b32 v2, v3, 16, v2
	global_store_b32 v[0:1], v2, off
.LBB0_23:
	s_nop 0
	s_sendmsg sendmsg(MSG_DEALLOC_VGPRS)
	s_endpgm
	.section	.rodata,"a",@progbits
	.p2align	6, 0x0
	.amdhsa_kernel bluestein_single_fwd_len975_dim1_half_op_CI_CI
		.amdhsa_group_segment_fixed_size 11700
		.amdhsa_private_segment_fixed_size 12
		.amdhsa_kernarg_size 104
		.amdhsa_user_sgpr_count 2
		.amdhsa_user_sgpr_dispatch_ptr 0
		.amdhsa_user_sgpr_queue_ptr 0
		.amdhsa_user_sgpr_kernarg_segment_ptr 1
		.amdhsa_user_sgpr_dispatch_id 0
		.amdhsa_user_sgpr_private_segment_size 0
		.amdhsa_wavefront_size32 1
		.amdhsa_uses_dynamic_stack 0
		.amdhsa_enable_private_segment 1
		.amdhsa_system_sgpr_workgroup_id_x 1
		.amdhsa_system_sgpr_workgroup_id_y 0
		.amdhsa_system_sgpr_workgroup_id_z 0
		.amdhsa_system_sgpr_workgroup_info 0
		.amdhsa_system_vgpr_workitem_id 0
		.amdhsa_next_free_vgpr 256
		.amdhsa_next_free_sgpr 17
		.amdhsa_reserve_vcc 1
		.amdhsa_float_round_mode_32 0
		.amdhsa_float_round_mode_16_64 0
		.amdhsa_float_denorm_mode_32 3
		.amdhsa_float_denorm_mode_16_64 3
		.amdhsa_fp16_overflow 0
		.amdhsa_workgroup_processor_mode 1
		.amdhsa_memory_ordered 1
		.amdhsa_forward_progress 0
		.amdhsa_round_robin_scheduling 0
		.amdhsa_exception_fp_ieee_invalid_op 0
		.amdhsa_exception_fp_denorm_src 0
		.amdhsa_exception_fp_ieee_div_zero 0
		.amdhsa_exception_fp_ieee_overflow 0
		.amdhsa_exception_fp_ieee_underflow 0
		.amdhsa_exception_fp_ieee_inexact 0
		.amdhsa_exception_int_div_zero 0
	.end_amdhsa_kernel
	.text
.Lfunc_end0:
	.size	bluestein_single_fwd_len975_dim1_half_op_CI_CI, .Lfunc_end0-bluestein_single_fwd_len975_dim1_half_op_CI_CI
                                        ; -- End function
	.section	.AMDGPU.csdata,"",@progbits
; Kernel info:
; codeLenInByte = 57940
; NumSgprs: 19
; NumVgprs: 256
; ScratchSize: 12
; MemoryBound: 0
; FloatMode: 240
; IeeeMode: 1
; LDSByteSize: 11700 bytes/workgroup (compile time only)
; SGPRBlocks: 2
; VGPRBlocks: 31
; NumSGPRsForWavesPerEU: 19
; NumVGPRsForWavesPerEU: 256
; Occupancy: 5
; WaveLimiterHint : 1
; COMPUTE_PGM_RSRC2:SCRATCH_EN: 1
; COMPUTE_PGM_RSRC2:USER_SGPR: 2
; COMPUTE_PGM_RSRC2:TRAP_HANDLER: 0
; COMPUTE_PGM_RSRC2:TGID_X_EN: 1
; COMPUTE_PGM_RSRC2:TGID_Y_EN: 0
; COMPUTE_PGM_RSRC2:TGID_Z_EN: 0
; COMPUTE_PGM_RSRC2:TIDIG_COMP_CNT: 0
	.text
	.p2alignl 7, 3214868480
	.fill 96, 4, 3214868480
	.type	__hip_cuid_dd088003e308d128,@object ; @__hip_cuid_dd088003e308d128
	.section	.bss,"aw",@nobits
	.globl	__hip_cuid_dd088003e308d128
__hip_cuid_dd088003e308d128:
	.byte	0                               ; 0x0
	.size	__hip_cuid_dd088003e308d128, 1

	.ident	"AMD clang version 19.0.0git (https://github.com/RadeonOpenCompute/llvm-project roc-6.4.0 25133 c7fe45cf4b819c5991fe208aaa96edf142730f1d)"
	.section	".note.GNU-stack","",@progbits
	.addrsig
	.addrsig_sym __hip_cuid_dd088003e308d128
	.amdgpu_metadata
---
amdhsa.kernels:
  - .args:
      - .actual_access:  read_only
        .address_space:  global
        .offset:         0
        .size:           8
        .value_kind:     global_buffer
      - .actual_access:  read_only
        .address_space:  global
        .offset:         8
        .size:           8
        .value_kind:     global_buffer
      - .actual_access:  read_only
        .address_space:  global
        .offset:         16
        .size:           8
        .value_kind:     global_buffer
      - .actual_access:  read_only
        .address_space:  global
        .offset:         24
        .size:           8
        .value_kind:     global_buffer
      - .actual_access:  read_only
        .address_space:  global
        .offset:         32
        .size:           8
        .value_kind:     global_buffer
      - .offset:         40
        .size:           8
        .value_kind:     by_value
      - .address_space:  global
        .offset:         48
        .size:           8
        .value_kind:     global_buffer
      - .address_space:  global
        .offset:         56
        .size:           8
        .value_kind:     global_buffer
      - .address_space:  global
        .offset:         64
        .size:           8
        .value_kind:     global_buffer
      - .address_space:  global
        .offset:         72
        .size:           8
        .value_kind:     global_buffer
      - .offset:         80
        .size:           4
        .value_kind:     by_value
      - .address_space:  global
        .offset:         88
        .size:           8
        .value_kind:     global_buffer
      - .address_space:  global
        .offset:         96
        .size:           8
        .value_kind:     global_buffer
    .group_segment_fixed_size: 11700
    .kernarg_segment_align: 8
    .kernarg_segment_size: 104
    .language:       OpenCL C
    .language_version:
      - 2
      - 0
    .max_flat_workgroup_size: 117
    .name:           bluestein_single_fwd_len975_dim1_half_op_CI_CI
    .private_segment_fixed_size: 12
    .sgpr_count:     19
    .sgpr_spill_count: 0
    .symbol:         bluestein_single_fwd_len975_dim1_half_op_CI_CI.kd
    .uniform_work_group_size: 1
    .uses_dynamic_stack: false
    .vgpr_count:     256
    .vgpr_spill_count: 2
    .wavefront_size: 32
    .workgroup_processor_mode: 1
amdhsa.target:   amdgcn-amd-amdhsa--gfx1201
amdhsa.version:
  - 1
  - 2
...

	.end_amdgpu_metadata
